;; amdgpu-corpus repo=ROCm/rocFFT kind=compiled arch=gfx1030 opt=O3
	.text
	.amdgcn_target "amdgcn-amd-amdhsa--gfx1030"
	.amdhsa_code_object_version 6
	.protected	bluestein_single_fwd_len1001_dim1_half_op_CI_CI ; -- Begin function bluestein_single_fwd_len1001_dim1_half_op_CI_CI
	.globl	bluestein_single_fwd_len1001_dim1_half_op_CI_CI
	.p2align	8
	.type	bluestein_single_fwd_len1001_dim1_half_op_CI_CI,@function
bluestein_single_fwd_len1001_dim1_half_op_CI_CI: ; @bluestein_single_fwd_len1001_dim1_half_op_CI_CI
; %bb.0:
	s_load_dwordx4 s[0:3], s[4:5], 0x28
	v_mul_u32_u24_e32 v1, 0x2d1, v0
	v_mov_b32_e32 v17, 0
	v_lshrrev_b32_e32 v1, 16, v1
	v_lshl_add_u32 v16, s6, 1, v1
	s_waitcnt lgkmcnt(0)
	v_cmp_gt_u64_e32 vcc_lo, s[0:1], v[16:17]
	s_and_saveexec_b32 s0, vcc_lo
	s_cbranch_execz .LBB0_23
; %bb.1:
	v_mul_lo_u16 v2, 0x5b, v1
	s_clause 0x1
	s_load_dwordx2 s[10:11], s[4:5], 0x0
	s_load_dwordx2 s[8:9], s[4:5], 0x38
	v_and_b32_e32 v1, 1, v1
	v_sub_nc_u16 v0, v0, v2
	v_cmp_eq_u32_e32 vcc_lo, 1, v1
	v_and_b32_e32 v41, 0xffff, v0
	v_cndmask_b32_e64 v27, 0, 0x3e9, vcc_lo
	v_cmp_gt_u16_e32 vcc_lo, 0x4d, v0
	v_lshlrev_b32_e32 v42, 2, v41
	v_lshlrev_b32_e32 v43, 2, v27
	s_and_saveexec_b32 s1, vcc_lo
	s_cbranch_execz .LBB0_3
; %bb.2:
	s_load_dwordx2 s[6:7], s[4:5], 0x18
	s_waitcnt lgkmcnt(0)
	s_load_dwordx4 s[12:15], s[6:7], 0x0
	s_waitcnt lgkmcnt(0)
	v_mad_u64_u32 v[0:1], null, s14, v16, 0
	v_mad_u64_u32 v[2:3], null, s12, v41, 0
	s_mul_i32 s6, s13, 0x134
	s_mul_hi_u32 s7, s12, 0x134
	s_add_i32 s7, s7, s6
	v_mad_u64_u32 v[4:5], null, s15, v16, v[1:2]
	v_mad_u64_u32 v[5:6], null, s13, v41, v[3:4]
	v_mov_b32_e32 v1, v4
	v_lshlrev_b64 v[0:1], 2, v[0:1]
	v_mov_b32_e32 v3, v5
	v_add_co_u32 v0, s0, s2, v0
	v_lshlrev_b64 v[2:3], 2, v[2:3]
	v_add_co_ci_u32_e64 v1, s0, s3, v1, s0
	s_mul_i32 s2, s12, 0x134
	v_add_co_u32 v0, s0, v0, v2
	v_add_co_ci_u32_e64 v1, s0, v1, v3, s0
	v_add_co_u32 v2, s0, v0, s2
	v_add_co_ci_u32_e64 v3, s0, s7, v1, s0
	v_add_co_u32 v4, s0, s10, v42
	v_add_co_ci_u32_e64 v5, null, s11, 0, s0
	s_clause 0x1
	global_load_dword v6, v[0:1], off
	global_load_dword v7, v[2:3], off
	v_add_co_u32 v0, s0, v2, s2
	v_add_co_ci_u32_e64 v1, s0, s7, v3, s0
	s_clause 0x6
	global_load_dword v8, v42, s[10:11]
	global_load_dword v9, v42, s[10:11] offset:308
	global_load_dword v10, v42, s[10:11] offset:616
	;; [unrolled: 1-line block ×6, first 2 shown]
	v_add_co_u32 v2, s0, v0, s2
	v_add_co_ci_u32_e64 v3, s0, s7, v1, s0
	s_clause 0x1
	global_load_dword v15, v[0:1], off
	global_load_dword v17, v[2:3], off
	v_add_co_u32 v0, s0, v2, s2
	v_add_co_ci_u32_e64 v1, s0, s7, v3, s0
	v_add_co_u32 v2, s0, v0, s2
	v_add_co_ci_u32_e64 v3, s0, s7, v1, s0
	global_load_dword v18, v[0:1], off
	v_add_co_u32 v0, s0, v2, s2
	v_add_co_ci_u32_e64 v1, s0, s7, v3, s0
	v_add_co_u32 v4, s0, 0x800, v4
	v_add_co_ci_u32_e64 v5, s0, 0, v5, s0
	global_load_dword v19, v[2:3], off
	global_load_dword v20, v[0:1], off
	v_add_co_u32 v0, s0, v0, s2
	v_add_co_ci_u32_e64 v1, s0, s7, v1, s0
	s_clause 0x2
	global_load_dword v21, v[4:5], off offset:108
	global_load_dword v22, v[4:5], off offset:416
	;; [unrolled: 1-line block ×3, first 2 shown]
	v_add_co_u32 v2, s0, v0, s2
	v_add_co_ci_u32_e64 v3, s0, s7, v1, s0
	global_load_dword v24, v[0:1], off
	v_add_co_u32 v0, s0, v2, s2
	v_add_co_ci_u32_e64 v1, s0, s7, v3, s0
	global_load_dword v25, v[2:3], off
	;; [unrolled: 3-line block ×4, first 2 shown]
	v_add_co_u32 v2, s0, v0, s2
	v_add_co_ci_u32_e64 v3, s0, s7, v1, s0
	global_load_dword v29, v[4:5], off offset:1032
	global_load_dword v0, v[0:1], off
	global_load_dword v1, v[2:3], off
	s_clause 0x1
	global_load_dword v2, v[4:5], off offset:1340
	global_load_dword v3, v[4:5], off offset:1648
	v_lshl_add_u32 v5, v41, 2, v43
	v_add_nc_u32_e32 v4, v43, v42
	v_add_nc_u32_e32 v31, 0x200, v4
	;; [unrolled: 1-line block ×5, first 2 shown]
	s_waitcnt vmcnt(25)
	v_lshrrev_b32_e32 v30, 16, v6
	s_waitcnt vmcnt(23)
	v_mul_f16_sdwa v33, v8, v6 dst_sel:DWORD dst_unused:UNUSED_PAD src0_sel:WORD_1 src1_sel:DWORD
	v_lshrrev_b32_e32 v36, 16, v7
	v_mul_f16_sdwa v35, v8, v30 dst_sel:DWORD dst_unused:UNUSED_PAD src0_sel:WORD_1 src1_sel:DWORD
	v_fma_f16 v30, v8, v30, -v33
	s_waitcnt vmcnt(22)
	v_mul_f16_sdwa v33, v9, v7 dst_sel:DWORD dst_unused:UNUSED_PAD src0_sel:WORD_1 src1_sel:DWORD
	v_fmac_f16_e32 v35, v8, v6
	v_mul_f16_sdwa v6, v9, v36 dst_sel:DWORD dst_unused:UNUSED_PAD src0_sel:WORD_1 src1_sel:DWORD
	s_waitcnt vmcnt(16)
	v_lshrrev_b32_e32 v8, 16, v15
	v_mul_f16_sdwa v38, v10, v15 dst_sel:DWORD dst_unused:UNUSED_PAD src0_sel:WORD_1 src1_sel:DWORD
	v_fma_f16 v33, v9, v36, -v33
	v_pack_b32_f16 v30, v35, v30
	v_fmac_f16_e32 v6, v9, v7
	v_mul_f16_sdwa v7, v10, v8 dst_sel:DWORD dst_unused:UNUSED_PAD src0_sel:WORD_1 src1_sel:DWORD
	s_waitcnt vmcnt(15)
	v_lshrrev_b32_e32 v9, 16, v17
	v_fma_f16 v8, v10, v8, -v38
	v_mul_f16_sdwa v35, v11, v17 dst_sel:DWORD dst_unused:UNUSED_PAD src0_sel:WORD_1 src1_sel:DWORD
	ds_write_b32 v5, v30
	v_pack_b32_f16 v5, v6, v33
	v_fmac_f16_e32 v7, v10, v15
	v_mul_f16_sdwa v6, v11, v9 dst_sel:DWORD dst_unused:UNUSED_PAD src0_sel:WORD_1 src1_sel:DWORD
	s_waitcnt vmcnt(14)
	v_lshrrev_b32_e32 v10, 16, v18
	v_mul_f16_sdwa v15, v12, v18 dst_sel:DWORD dst_unused:UNUSED_PAD src0_sel:WORD_1 src1_sel:DWORD
	v_fma_f16 v9, v11, v9, -v35
	v_pack_b32_f16 v7, v7, v8
	v_fmac_f16_e32 v6, v11, v17
	v_mul_f16_sdwa v8, v12, v10 dst_sel:DWORD dst_unused:UNUSED_PAD src0_sel:WORD_1 src1_sel:DWORD
	v_fma_f16 v10, v12, v10, -v15
	s_waitcnt vmcnt(13)
	v_lshrrev_b32_e32 v11, 16, v19
	v_mul_f16_sdwa v15, v13, v19 dst_sel:DWORD dst_unused:UNUSED_PAD src0_sel:WORD_1 src1_sel:DWORD
	ds_write2_b32 v4, v5, v7 offset0:77 offset1:154
	v_pack_b32_f16 v5, v6, v9
	v_fmac_f16_e32 v8, v12, v18
	v_mul_f16_sdwa v6, v13, v11 dst_sel:DWORD dst_unused:UNUSED_PAD src0_sel:WORD_1 src1_sel:DWORD
	s_waitcnt vmcnt(12)
	v_lshrrev_b32_e32 v7, 16, v20
	v_fma_f16 v9, v13, v11, -v15
	v_mul_f16_sdwa v11, v14, v20 dst_sel:DWORD dst_unused:UNUSED_PAD src0_sel:WORD_1 src1_sel:DWORD
	v_pack_b32_f16 v8, v8, v10
	v_fmac_f16_e32 v6, v13, v19
	v_mul_f16_sdwa v10, v14, v7 dst_sel:DWORD dst_unused:UNUSED_PAD src0_sel:WORD_1 src1_sel:DWORD
	s_waitcnt vmcnt(8)
	v_lshrrev_b32_e32 v12, 16, v24
	v_mul_f16_sdwa v13, v21, v24 dst_sel:DWORD dst_unused:UNUSED_PAD src0_sel:WORD_1 src1_sel:DWORD
	v_fma_f16 v7, v14, v7, -v11
	v_pack_b32_f16 v6, v6, v9
	v_fmac_f16_e32 v10, v14, v20
	v_mul_f16_sdwa v9, v21, v12 dst_sel:DWORD dst_unused:UNUSED_PAD src0_sel:WORD_1 src1_sel:DWORD
	v_fma_f16 v11, v21, v12, -v13
	s_waitcnt vmcnt(7)
	v_lshrrev_b32_e32 v12, 16, v25
	v_mul_f16_sdwa v13, v22, v25 dst_sel:DWORD dst_unused:UNUSED_PAD src0_sel:WORD_1 src1_sel:DWORD
	v_pack_b32_f16 v7, v10, v7
	v_fmac_f16_e32 v9, v21, v24
	s_waitcnt vmcnt(6)
	v_lshrrev_b32_e32 v10, 16, v26
	v_mul_f16_sdwa v14, v22, v12 dst_sel:DWORD dst_unused:UNUSED_PAD src0_sel:WORD_1 src1_sel:DWORD
	v_fma_f16 v12, v22, v12, -v13
	v_mul_f16_sdwa v13, v23, v26 dst_sel:DWORD dst_unused:UNUSED_PAD src0_sel:WORD_1 src1_sel:DWORD
	s_waitcnt vmcnt(5)
	v_lshrrev_b32_e32 v15, 16, v28
	v_pack_b32_f16 v9, v9, v11
	v_mul_f16_sdwa v11, v23, v10 dst_sel:DWORD dst_unused:UNUSED_PAD src0_sel:WORD_1 src1_sel:DWORD
	s_waitcnt vmcnt(3)
	v_lshrrev_b32_e32 v17, 16, v0
	v_fma_f16 v10, v23, v10, -v13
	v_mul_f16_sdwa v13, v29, v28 dst_sel:DWORD dst_unused:UNUSED_PAD src0_sel:WORD_1 src1_sel:DWORD
	s_waitcnt vmcnt(2)
	v_lshrrev_b32_e32 v19, 16, v1
	v_mul_f16_sdwa v18, v29, v15 dst_sel:DWORD dst_unused:UNUSED_PAD src0_sel:WORD_1 src1_sel:DWORD
	v_fmac_f16_e32 v14, v22, v25
	s_waitcnt vmcnt(1)
	v_mul_f16_sdwa v20, v2, v17 dst_sel:DWORD dst_unused:UNUSED_PAD src0_sel:WORD_1 src1_sel:DWORD
	v_fma_f16 v13, v29, v15, -v13
	v_mul_f16_sdwa v15, v2, v0 dst_sel:DWORD dst_unused:UNUSED_PAD src0_sel:WORD_1 src1_sel:DWORD
	s_waitcnt vmcnt(0)
	v_mul_f16_sdwa v21, v3, v1 dst_sel:DWORD dst_unused:UNUSED_PAD src0_sel:WORD_1 src1_sel:DWORD
	v_mul_f16_sdwa v22, v3, v19 dst_sel:DWORD dst_unused:UNUSED_PAD src0_sel:WORD_1 src1_sel:DWORD
	v_fmac_f16_e32 v11, v23, v26
	v_fmac_f16_e32 v18, v29, v28
	v_fma_f16 v15, v2, v17, -v15
	v_fmac_f16_e32 v20, v2, v0
	v_fma_f16 v0, v3, v19, -v21
	v_fmac_f16_e32 v22, v3, v1
	v_pack_b32_f16 v1, v14, v12
	v_pack_b32_f16 v2, v11, v10
	;; [unrolled: 1-line block ×5, first 2 shown]
	v_add_nc_u32_e32 v4, 0xc00, v4
	ds_write2_b32 v31, v5, v8 offset0:103 offset1:180
	ds_write2_b32 v32, v6, v7 offset0:129 offset1:206
	;; [unrolled: 1-line block ×5, first 2 shown]
.LBB0_3:
	s_or_b32 exec_lo, exec_lo, s1
	s_waitcnt lgkmcnt(0)
	s_barrier
	buffer_gl0_inv
                                        ; implicit-def: $vgpr0
                                        ; implicit-def: $vgpr2
                                        ; implicit-def: $vgpr21
                                        ; implicit-def: $vgpr19
                                        ; implicit-def: $vgpr20
                                        ; implicit-def: $vgpr22
                                        ; implicit-def: $vgpr5
                                        ; implicit-def: $vgpr23
                                        ; implicit-def: $vgpr24
                                        ; implicit-def: $vgpr7
                                        ; implicit-def: $vgpr25
                                        ; implicit-def: $vgpr26
                                        ; implicit-def: $vgpr15
                                        ; implicit-def: $vgpr28
                                        ; implicit-def: $vgpr29
                                        ; implicit-def: $vgpr18
                                        ; implicit-def: $vgpr30
                                        ; implicit-def: $vgpr31
                                        ; implicit-def: $vgpr32
	s_and_saveexec_b32 s0, vcc_lo
	s_cbranch_execz .LBB0_5
; %bb.4:
	v_lshl_add_u32 v8, v27, 2, v42
	v_add_nc_u32_e32 v2, 0x400, v8
	v_add_nc_u32_e32 v3, 0x600, v8
	;; [unrolled: 1-line block ×3, first 2 shown]
	ds_read2_b32 v[0:1], v8 offset1:77
	ds_read2_b32 v[17:18], v8 offset0:154 offset1:231
	ds_read2_b32 v[14:15], v2 offset0:52 offset1:129
	v_add_nc_u32_e32 v2, 0xc00, v8
	ds_read2_b32 v[6:7], v3 offset0:78 offset1:155
	ds_read2_b32 v[4:5], v4 offset0:104 offset1:181
	ds_read2_b32 v[2:3], v2 offset0:2 offset1:79
	ds_read_b32 v19, v8 offset:3696
	s_waitcnt lgkmcnt(6)
	v_lshrrev_b32_e32 v32, 16, v1
	s_waitcnt lgkmcnt(5)
	v_lshrrev_b32_e32 v31, 16, v17
	v_lshrrev_b32_e32 v30, 16, v18
	s_waitcnt lgkmcnt(4)
	v_lshrrev_b32_e32 v29, 16, v14
	;; [unrolled: 3-line block ×6, first 2 shown]
.LBB0_5:
	s_or_b32 exec_lo, exec_lo, s0
	v_sub_f16_e32 v10, v32, v20
	v_add_f16_e32 v58, v19, v1
	v_sub_f16_e32 v11, v31, v22
	v_add_f16_e32 v60, v3, v17
	v_sub_f16_e32 v12, v30, v21
	v_mul_f16_e32 v36, 0xb770, v10
	v_mul_f16_e32 v48, 0xba95, v10
	v_mul_f16_e32 v35, 0xba95, v11
	v_mul_f16_e32 v47, 0xbb7b, v11
	v_add_f16_e32 v61, v2, v18
	v_fmamk_f16 v8, v58, 0x3b15, v36
	v_fmamk_f16 v9, v58, 0x388b, v48
	v_fmamk_f16 v33, v60, 0x388b, v35
	v_mul_f16_e32 v37, 0xbbf1, v12
	v_fmamk_f16 v38, v60, 0xb5ac, v47
	v_add_f16_e32 v8, v8, v0
	v_add_f16_e32 v9, v9, v0
	v_mul_f16_e32 v51, 0xb3a8, v12
	v_fmamk_f16 v39, v61, 0x2fb7, v37
	v_mul_f16_e32 v52, 0xbbf1, v10
	v_add_f16_e32 v8, v33, v8
	v_sub_f16_e32 v33, v29, v23
	v_add_f16_e32 v9, v38, v9
	v_fmamk_f16 v40, v61, 0xbbc4, v51
	v_add_f16_e32 v62, v5, v14
	v_add_f16_e32 v8, v39, v8
	v_mul_f16_e32 v45, 0xbb7b, v33
	v_mul_f16_e32 v50, 0x394e, v33
	v_sub_f16_e32 v39, v28, v24
	v_mul_f16_e32 v56, 0xbb7b, v10
	v_fmamk_f16 v13, v58, 0x2fb7, v52
	v_mul_f16_e32 v54, 0xb3a8, v11
	v_add_f16_e32 v9, v40, v9
	v_fmamk_f16 v40, v62, 0xb5ac, v45
	v_fmamk_f16 v44, v62, 0xb9fd, v50
	v_add_f16_e32 v63, v4, v15
	v_mul_f16_e32 v55, 0x3bf1, v39
	v_fmamk_f16 v34, v58, 0xb5ac, v56
	v_add_f16_e32 v13, v13, v0
	v_fmamk_f16 v38, v60, 0xbbc4, v54
	v_mul_f16_e32 v49, 0xb94e, v39
	v_add_f16_e32 v8, v40, v8
	v_sub_f16_e32 v40, v26, v25
	v_add_f16_e32 v9, v44, v9
	v_fmamk_f16 v46, v63, 0x2fb7, v55
	v_mul_f16_e32 v73, 0x394e, v11
	v_mul_f16_e32 v66, 0x3b7b, v12
	v_fmamk_f16 v44, v63, 0xb9fd, v49
	v_add_f16_e32 v67, v7, v6
	v_mul_f16_e32 v53, 0xb3a8, v40
	v_mul_f16_e32 v59, 0x3770, v40
	v_add_f16_e32 v13, v38, v13
	v_add_f16_e32 v38, v46, v9
	;; [unrolled: 1-line block ×3, first 2 shown]
	v_fmamk_f16 v46, v60, 0xb9fd, v73
	v_fmamk_f16 v57, v61, 0xb5ac, v66
	v_mul_f16_e32 v71, 0x3770, v12
	v_mul_f16_e32 v64, 0x3770, v33
	v_add_f16_e32 v8, v44, v8
	v_fmamk_f16 v9, v67, 0xbbc4, v53
	v_fmamk_f16 v44, v67, 0x3b15, v59
	v_add_f16_e32 v34, v46, v34
	v_add_f16_e32 v13, v57, v13
	v_fmamk_f16 v46, v61, 0x3b15, v71
	v_fmamk_f16 v57, v62, 0x3b15, v64
	v_mul_f16_e32 v72, 0xbbf1, v33
	v_mul_f16_e32 v65, 0xba95, v39
	v_add_f16_e32 v9, v9, v8
	v_add_f16_e32 v8, v44, v38
	;; [unrolled: 1-line block ×4, first 2 shown]
	v_fmamk_f16 v38, v62, 0x2fb7, v72
	v_fmamk_f16 v44, v63, 0x388b, v65
	v_mul_f16_e32 v70, 0x33a8, v39
	v_mul_f16_e32 v57, 0xb94e, v40
	;; [unrolled: 1-line block ×3, first 2 shown]
	v_add_f16_e32 v34, v38, v34
	v_add_f16_e32 v13, v44, v13
	v_fmamk_f16 v38, v63, 0xbbc4, v70
	v_fmamk_f16 v44, v67, 0xb9fd, v57
	;; [unrolled: 1-line block ×3, first 2 shown]
	v_mul_f16_e32 v87, 0x3bf1, v11
	v_mul_f16_e32 v97, 0xb3a8, v10
	v_add_f16_e32 v10, v38, v34
	v_add_f16_e32 v13, v44, v13
	v_add_f16_e32 v34, v46, v0
	v_fmamk_f16 v38, v60, 0x2fb7, v87
	v_fmamk_f16 v44, v58, 0xbbc4, v97
	v_mul_f16_e32 v98, 0x3770, v11
	v_mul_f16_e32 v88, 0xba95, v12
	;; [unrolled: 1-line block ×3, first 2 shown]
	v_add_f16_e32 v11, v38, v34
	v_add_f16_e32 v34, v44, v0
	v_fmamk_f16 v38, v60, 0x3b15, v98
	v_mul_f16_e32 v99, 0xb94e, v12
	v_fmamk_f16 v44, v61, 0x388b, v88
	v_fmamk_f16 v12, v67, 0x388b, v74
	v_mul_f16_e32 v83, 0x33a8, v33
	v_add_f16_e32 v34, v38, v34
	v_fmamk_f16 v38, v61, 0xb9fd, v99
	v_mul_f16_e32 v94, 0x3a95, v33
	v_add_f16_e32 v11, v44, v11
	v_fmamk_f16 v33, v62, 0xbbc4, v83
	v_add_f16_e32 v12, v12, v10
	v_mul_f16_e32 v85, 0x3770, v39
	v_add_f16_e32 v10, v38, v34
	v_fmamk_f16 v34, v62, 0x388b, v94
	v_mul_f16_e32 v96, 0xbb7b, v39
	v_add_f16_e32 v11, v33, v11
	v_fmamk_f16 v33, v63, 0x3b15, v85
	v_mul_f16_e32 v82, 0xbb7b, v40
	v_add_f16_e32 v10, v34, v10
	v_sub_f16_e32 v34, v1, v19
	v_fmamk_f16 v38, v63, 0xb5ac, v96
	v_add_f16_e32 v11, v33, v11
	v_fmamk_f16 v33, v67, 0xb5ac, v82
	v_add_f16_e32 v104, v20, v32
	v_mul_f16_e32 v68, 0xb770, v34
	v_add_f16_e32 v10, v38, v10
	v_sub_f16_e32 v38, v17, v3
	v_mul_f16_e32 v102, 0x3bf1, v40
	v_add_f16_e32 v11, v33, v11
	v_fma_f16 v33, v104, 0x3b15, -v68
	v_mul_f16_e32 v78, 0xba95, v34
	v_add_f16_e32 v101, v22, v31
	v_mul_f16_e32 v69, 0xba95, v38
	v_fmamk_f16 v39, v67, 0x2fb7, v102
	v_add_f16_sdwa v33, v33, v0 dst_sel:DWORD dst_unused:UNUSED_PAD src0_sel:DWORD src1_sel:WORD_1
	v_fma_f16 v40, v104, 0x388b, -v78
	v_mul_f16_e32 v77, 0xbb7b, v38
	v_fma_f16 v44, v101, 0x388b, -v69
	v_mul_f16_e32 v89, 0xbbf1, v34
	v_add_f16_e32 v10, v39, v10
	v_add_f16_sdwa v39, v40, v0 dst_sel:DWORD dst_unused:UNUSED_PAD src0_sel:DWORD src1_sel:WORD_1
	v_fma_f16 v40, v101, 0xb5ac, -v77
	v_add_f16_e32 v33, v44, v33
	v_fma_f16 v44, v104, 0x2fb7, -v89
	v_mul_f16_e32 v100, 0xbb7b, v34
	v_mul_f16_e32 v103, 0x394e, v38
	v_add_f16_e32 v39, v40, v39
	v_mul_f16_e32 v90, 0xb3a8, v38
	v_add_f16_sdwa v40, v44, v0 dst_sel:DWORD dst_unused:UNUSED_PAD src0_sel:DWORD src1_sel:WORD_1
	v_fma_f16 v44, v104, 0xb5ac, -v100
	v_mul_f16_e32 v112, 0xb94e, v34
	v_mul_f16_e32 v119, 0xb3a8, v34
	v_fma_f16 v34, v101, 0xb9fd, -v103
	v_fma_f16 v46, v101, 0xbbc4, -v90
	v_add_f16_sdwa v44, v44, v0 dst_sel:DWORD dst_unused:UNUSED_PAD src0_sel:DWORD src1_sel:WORD_1
	v_fma_f16 v75, v104, 0xb9fd, -v112
	v_mul_f16_e32 v113, 0x3bf1, v38
	v_mul_f16_e32 v120, 0x3770, v38
	v_add_f16_e32 v40, v46, v40
	v_add_f16_e32 v34, v34, v44
	v_sub_f16_e32 v44, v18, v2
	v_add_f16_sdwa v75, v75, v0 dst_sel:DWORD dst_unused:UNUSED_PAD src0_sel:DWORD src1_sel:WORD_1
	v_fma_f16 v76, v101, 0x2fb7, -v113
	v_fma_f16 v46, v104, 0xbbc4, -v119
	v_add_f16_e32 v106, v21, v30
	v_mul_f16_e32 v81, 0xb3a8, v44
	v_mul_f16_e32 v108, 0x3770, v44
	v_add_f16_e32 v79, v76, v75
	v_add_f16_sdwa v38, v46, v0 dst_sel:DWORD dst_unused:UNUSED_PAD src0_sel:DWORD src1_sel:WORD_1
	v_mul_f16_e32 v75, 0xbbf1, v44
	v_fma_f16 v46, v101, 0x3b15, -v120
	v_fma_f16 v80, v106, 0xbbc4, -v81
	v_mul_f16_e32 v93, 0x3b7b, v44
	v_mul_f16_e32 v122, 0xb94e, v44
	v_fma_f16 v76, v106, 0x2fb7, -v75
	v_add_f16_e32 v38, v46, v38
	v_fma_f16 v46, v106, 0x3b15, -v108
	v_add_f16_e32 v39, v80, v39
	v_sub_f16_e32 v80, v14, v5
	v_fma_f16 v86, v106, 0xb5ac, -v93
	v_add_f16_e32 v33, v76, v33
	v_add_f16_e32 v34, v46, v34
	;; [unrolled: 1-line block ×3, first 2 shown]
	v_mul_f16_e32 v76, 0xbb7b, v80
	v_fma_f16 v46, v106, 0xb9fd, -v122
	v_add_f16_e32 v40, v86, v40
	v_mul_f16_e32 v117, 0xba95, v44
	v_mul_f16_e32 v91, 0x394e, v80
	;; [unrolled: 1-line block ×3, first 2 shown]
	v_fma_f16 v86, v109, 0xb5ac, -v76
	v_add_f16_e32 v38, v46, v38
	v_sub_f16_e32 v46, v15, v4
	v_fma_f16 v44, v106, 0x388b, -v117
	v_fma_f16 v92, v109, 0xb9fd, -v91
	;; [unrolled: 1-line block ×3, first 2 shown]
	v_add_f16_e32 v33, v86, v33
	v_mul_f16_e32 v114, 0xbbf1, v80
	v_mul_f16_e32 v124, 0x3a95, v80
	v_add_f16_e32 v110, v24, v28
	v_mul_f16_e32 v86, 0x3bf1, v46
	v_add_f16_e32 v44, v44, v79
	v_add_f16_e32 v39, v92, v39
	;; [unrolled: 1-line block ×3, first 2 shown]
	v_mul_f16_e32 v118, 0x33a8, v80
	v_mul_f16_e32 v79, 0xb94e, v46
	v_fma_f16 v80, v109, 0x2fb7, -v114
	v_fma_f16 v105, v109, 0x388b, -v124
	;; [unrolled: 1-line block ×3, first 2 shown]
	v_sub_f16_e32 v126, v6, v7
	v_fma_f16 v92, v109, 0xbbc4, -v118
	v_fma_f16 v107, v110, 0xb9fd, -v79
	v_add_f16_e32 v34, v80, v34
	v_add_f16_e32 v38, v105, v38
	;; [unrolled: 1-line block ×3, first 2 shown]
	v_mul_f16_e32 v105, 0xba95, v46
	v_mul_f16_e32 v115, 0x33a8, v46
	;; [unrolled: 1-line block ×4, first 2 shown]
	v_add_f16_e32 v111, v25, v26
	v_mul_f16_e32 v80, 0xb3a8, v126
	v_add_f16_e32 v44, v92, v44
	v_add_f16_e32 v33, v107, v33
	v_fma_f16 v46, v110, 0x388b, -v105
	v_fma_f16 v92, v110, 0xbbc4, -v115
	;; [unrolled: 1-line block ×5, first 2 shown]
	s_clause 0x1
	s_load_dwordx2 s[6:7], s[4:5], 0x20
	s_load_dwordx2 s[2:3], s[4:5], 0x8
	v_add_f16_e32 v40, v46, v40
	v_add_f16_e32 v46, v92, v34
	;; [unrolled: 1-line block ×5, first 2 shown]
	v_mul_f16_e32 v92, 0x3770, v126
	v_mul_f16_e32 v107, 0xb94e, v126
	;; [unrolled: 1-line block ×5, first 2 shown]
	v_fma_f16 v33, v111, 0x3b15, -v92
	v_fma_f16 v128, v111, 0xb9fd, -v107
	;; [unrolled: 1-line block ×5, first 2 shown]
	v_add_f16_e32 v38, v33, v39
	v_add_f16_e32 v39, v128, v40
	v_add_f16_e32 v40, v129, v46
	v_add_f16_e32 v44, v130, v44
	v_add_f16_e32 v33, v131, v127
	v_mul_lo_u16 v46, v41, 13
	s_waitcnt lgkmcnt(0)
	s_barrier
	buffer_gl0_inv
	s_and_saveexec_b32 s0, vcc_lo
	s_cbranch_execz .LBB0_7
; %bb.6:
	v_mul_f16_e32 v127, 0xbbc4, v104
	v_mul_f16_e32 v128, 0x3b15, v101
	;; [unrolled: 1-line block ×5, first 2 shown]
	v_add_f16_e32 v119, v119, v127
	v_add_f16_e32 v120, v120, v128
	;; [unrolled: 1-line block ×3, first 2 shown]
	v_mul_f16_e32 v131, 0xb5ac, v110
	v_mul_f16_e32 v133, 0x3b15, v60
	v_add_f16_sdwa v119, v119, v0 dst_sel:DWORD dst_unused:UNUSED_PAD src0_sel:DWORD src1_sel:WORD_1
	v_add_f16_e32 v124, v124, v130
	v_sub_f16_e32 v97, v132, v97
	v_mul_f16_e32 v129, 0xb9fd, v104
	v_add_f16_e32 v125, v125, v131
	v_add_f16_e32 v119, v120, v119
	v_sub_f16_e32 v98, v133, v98
	v_add_f16_e32 v97, v97, v0
	v_mul_f16_e32 v134, 0xb9fd, v61
	v_add_f16_e32 v112, v112, v129
	v_add_f16_e32 v119, v122, v119
	v_mul_f16_e32 v128, 0x3b15, v58
	v_add_f16_e32 v97, v98, v97
	v_sub_f16_e32 v99, v134, v99
	v_add_f16_sdwa v112, v112, v0 dst_sel:DWORD dst_unused:UNUSED_PAD src0_sel:DWORD src1_sel:WORD_1
	v_add_f16_e32 v119, v124, v119
	v_mul_f16_e32 v120, 0x388b, v58
	v_mul_f16_e32 v124, 0x2fb7, v58
	v_add_f16_e32 v97, v99, v97
	v_mul_f16_e32 v135, 0x3b15, v104
	v_add_f16_e32 v98, v125, v119
	v_mul_f16_e32 v119, 0x2fb7, v101
	v_mul_f16_e32 v125, 0x388b, v62
	;; [unrolled: 1-line block ×5, first 2 shown]
	v_add_f16_e32 v113, v113, v119
	v_sub_f16_e32 v94, v125, v94
	v_mul_f16_e32 v125, 0x388b, v106
	v_mul_f16_e32 v119, 0xb5ac, v58
	;; [unrolled: 1-line block ×3, first 2 shown]
	v_add_f16_e32 v112, v113, v112
	v_mul_f16_e32 v113, 0xb5ac, v63
	v_add_f16_e32 v117, v117, v125
	v_add_f16_e32 v94, v94, v97
	v_mul_f16_e32 v97, 0xbbc4, v109
	v_sub_f16_e32 v58, v58, v84
	v_sub_f16_e32 v96, v113, v96
	v_add_f16_e32 v112, v117, v112
	v_mul_f16_e32 v117, 0x2fb7, v67
	v_add_f16_e32 v97, v118, v97
	v_add_f16_e32 v58, v58, v0
	;; [unrolled: 1-line block ×3, first 2 shown]
	v_mul_f16_e32 v96, 0x3b15, v110
	v_sub_f16_e32 v102, v117, v102
	v_add_f16_e32 v97, v97, v112
	v_mul_f16_e32 v113, 0x388b, v101
	v_mul_f16_e32 v117, 0xb5ac, v101
	v_add_f16_e32 v96, v121, v96
	v_mul_f16_e32 v121, 0x2fb7, v60
	v_add_f16_e32 v94, v102, v94
	v_mul_f16_e32 v102, 0x388b, v61
	v_mul_f16_e32 v84, 0xbbc4, v101
	;; [unrolled: 1-line block ×3, first 2 shown]
	v_sub_f16_e32 v87, v121, v87
	v_add_f16_e32 v96, v96, v97
	v_sub_f16_e32 v88, v102, v88
	v_mul_f16_e32 v97, 0xb5ac, v111
	v_add_f16_e32 v100, v100, v104
	v_add_f16_e32 v58, v87, v58
	v_mul_f16_e32 v87, 0x2fb7, v106
	v_add_f16_e32 v101, v103, v101
	v_add_f16_e32 v97, v123, v97
	v_mul_f16_e32 v123, 0xbbc4, v106
	v_add_f16_e32 v58, v88, v58
	v_mul_f16_e32 v88, 0xbbc4, v62
	v_mul_f16_e32 v103, 0xb5ac, v106
	v_add_f16_sdwa v100, v100, v0 dst_sel:DWORD dst_unused:UNUSED_PAD src0_sel:DWORD src1_sel:WORD_1
	v_mul_f16_e32 v106, 0x3b15, v106
	v_mul_f16_e32 v125, 0x388b, v60
	v_sub_f16_e32 v83, v88, v83
	v_mul_f16_e32 v118, 0xb5ac, v60
	v_mul_f16_e32 v112, 0xbbc4, v60
	v_mul_f16_e32 v60, 0xb9fd, v60
	v_add_f16_e32 v100, v101, v100
	v_mul_f16_e32 v101, 0x3b15, v63
	v_add_f16_e32 v106, v108, v106
	v_add_f16_e32 v58, v83, v58
	v_mul_f16_e32 v83, 0x2fb7, v109
	v_sub_f16_e32 v56, v119, v56
	v_mul_f16_e32 v121, 0x2fb7, v61
	v_mul_f16_e32 v102, 0xbbc4, v61
	;; [unrolled: 1-line block ×4, first 2 shown]
	v_sub_f16_e32 v85, v101, v85
	v_add_f16_e32 v100, v106, v100
	v_add_f16_e32 v83, v114, v83
	;; [unrolled: 1-line block ×3, first 2 shown]
	v_mul_f16_e32 v97, 0xbbc4, v110
	v_sub_f16_e32 v60, v60, v73
	v_add_f16_e32 v56, v56, v0
	v_mul_f16_e32 v88, 0xb5ac, v62
	v_mul_f16_e32 v101, 0xb9fd, v62
	;; [unrolled: 1-line block ×4, first 2 shown]
	v_add_f16_e32 v58, v85, v58
	v_mul_f16_e32 v85, 0xb5ac, v67
	v_add_f16_e32 v83, v83, v100
	v_add_f16_e32 v97, v115, v97
	;; [unrolled: 1-line block ×4, first 2 shown]
	v_sub_f16_e32 v61, v61, v71
	v_mul_f16_e32 v100, 0xb9fd, v63
	v_sub_f16_e32 v82, v85, v82
	v_mul_f16_e32 v85, 0x2fb7, v63
	v_add_f16_e32 v83, v97, v83
	v_mul_f16_e32 v97, 0x388b, v111
	v_mul_f16_e32 v73, 0x388b, v63
	v_mul_f16_e32 v63, 0xbbc4, v63
	v_add_f16_e32 v84, v90, v84
	v_add_f16_sdwa v89, v89, v0 dst_sel:DWORD dst_unused:UNUSED_PAD src0_sel:DWORD src1_sel:WORD_1
	v_add_f16_e32 v56, v61, v56
	v_sub_f16_e32 v61, v62, v72
	v_mul_f16_e32 v108, 0xb5ac, v109
	v_mul_f16_e32 v106, 0xb9fd, v109
	;; [unrolled: 1-line block ×3, first 2 shown]
	v_add_f16_e32 v97, v116, v97
	v_mul_f16_e32 v116, 0xbbc4, v67
	v_mul_f16_e32 v99, 0x3b15, v67
	;; [unrolled: 1-line block ×4, first 2 shown]
	v_add_f16_e32 v62, v84, v89
	v_add_f16_e32 v72, v93, v103
	v_sub_f16_e32 v52, v124, v52
	v_add_f16_e32 v56, v61, v56
	v_sub_f16_e32 v61, v63, v70
	v_mul_f16_e32 v115, 0xb9fd, v110
	v_mul_f16_e32 v119, 0x2fb7, v110
	;; [unrolled: 1-line block ×3, first 2 shown]
	v_add_f16_e32 v62, v72, v62
	v_add_f16_e32 v63, v95, v109
	;; [unrolled: 1-line block ×3, first 2 shown]
	v_sub_f16_e32 v54, v112, v54
	v_add_f16_e32 v56, v61, v56
	v_sub_f16_e32 v61, v67, v74
	v_add_f16_e32 v62, v63, v62
	v_add_f16_e32 v63, v105, v110
	v_add_f16_e32 v52, v54, v52
	v_sub_f16_e32 v54, v104, v66
	v_add_f16_e32 v56, v61, v56
	v_add_f16_e32 v61, v78, v122
	;; [unrolled: 1-line block ×3, first 2 shown]
	v_sub_f16_e32 v48, v120, v48
	v_add_f16_e32 v52, v54, v52
	v_sub_f16_e32 v54, v114, v64
	v_add_f16_sdwa v61, v61, v0 dst_sel:DWORD dst_unused:UNUSED_PAD src0_sel:DWORD src1_sel:WORD_1
	v_add_f16_e32 v63, v77, v117
	v_add_f16_e32 v48, v48, v0
	v_sub_f16_e32 v47, v118, v47
	v_add_f16_e32 v52, v54, v52
	v_sub_f16_e32 v54, v73, v65
	v_add_f16_e32 v61, v63, v61
	v_add_f16_e32 v63, v81, v123
	v_add_f16_sdwa v32, v32, v0 dst_sel:DWORD dst_unused:UNUSED_PAD src0_sel:DWORD src1_sel:WORD_1
	v_add_f16_e32 v1, v1, v0
	v_add_f16_e32 v47, v47, v48
	v_sub_f16_e32 v48, v102, v51
	v_add_f16_e32 v52, v54, v52
	v_add_f16_e32 v54, v63, v61
	;; [unrolled: 1-line block ×5, first 2 shown]
	v_mul_f16_e32 v71, 0x3b15, v111
	v_add_f16_e32 v47, v48, v47
	v_sub_f16_e32 v48, v101, v50
	v_add_f16_e32 v50, v61, v54
	v_add_f16_e32 v54, v86, v119
	;; [unrolled: 1-line block ×9, first 2 shown]
	v_mul_f16_e32 v60, 0xbbc4, v111
	v_sub_f16_e32 v32, v85, v55
	v_add_f16_e32 v14, v18, v47
	v_add_f16_e32 v18, v68, v135
	;; [unrolled: 1-line block ×4, first 2 shown]
	v_sub_f16_e32 v15, v128, v36
	v_add_f16_e32 v29, v69, v113
	v_add_f16_sdwa v18, v18, v0 dst_sel:DWORD dst_unused:UNUSED_PAD src0_sel:DWORD src1_sel:WORD_1
	v_add_f16_e32 v26, v26, v28
	v_add_f16_e32 v1, v6, v1
	;; [unrolled: 1-line block ×3, first 2 shown]
	v_sub_f16_e32 v6, v125, v35
	v_add_f16_e32 v15, v29, v18
	v_add_f16_e32 v18, v25, v26
	v_add_f16_e32 v1, v7, v1
	v_add_f16_e32 v7, v75, v87
	v_add_f16_e32 v0, v6, v0
	v_sub_f16_e32 v6, v121, v37
	v_add_f16_e32 v18, v24, v18
	v_add_f16_e32 v1, v4, v1
	;; [unrolled: 1-line block ×7, first 2 shown]
	v_sub_f16_e32 v5, v88, v45
	v_add_f16_e32 v4, v7, v4
	v_add_f16_e32 v7, v79, v115
	;; [unrolled: 1-line block ×5, first 2 shown]
	v_sub_f16_e32 v2, v100, v49
	v_mul_f16_e32 v127, 0x2fb7, v111
	v_mul_f16_e32 v111, 0xb9fd, v111
	v_add_f16_e32 v4, v7, v4
	v_add_f16_e32 v5, v22, v6
	;; [unrolled: 1-line block ×5, first 2 shown]
	v_sub_f16_e32 v2, v116, v53
	v_add_f16_e32 v17, v32, v17
	v_sub_f16_e32 v31, v99, v59
	v_add_f16_e32 v51, v107, v111
	v_add_f16_sdwa v5, v20, v5 dst_sel:WORD_1 dst_unused:UNUSED_PAD src0_sel:DWORD src1_sel:DWORD
	v_add_f16_e32 v1, v19, v1
	v_and_b32_e32 v6, 0xffff, v46
	v_add_f16_e32 v3, v3, v4
	v_add_f16_e32 v0, v2, v0
	v_sub_f16_e32 v2, v90, v57
	v_add_f16_e32 v126, v126, v127
	v_add_f16_e32 v17, v31, v17
	;; [unrolled: 1-line block ×3, first 2 shown]
	v_or_b32_sdwa v1, v5, v1 dst_sel:DWORD dst_unused:UNUSED_PAD src0_sel:DWORD src1_sel:WORD_0
	v_add_lshl_u32 v4, v27, v6, 2
	v_pack_b32_f16 v0, v0, v3
	v_add_f16_e32 v3, v51, v62
	v_add_f16_e32 v2, v2, v52
	;; [unrolled: 1-line block ×3, first 2 shown]
	v_pack_b32_f16 v5, v17, v14
	v_add_f16_e32 v6, v82, v58
	ds_write_b32 v4, v1
	ds_write2_b32 v4, v0, v5 offset0:1 offset1:2
	v_pack_b32_f16 v0, v56, v83
	v_pack_b32_f16 v1, v2, v3
	;; [unrolled: 1-line block ×4, first 2 shown]
	v_perm_b32 v5, v44, v11, 0x5040100
	v_perm_b32 v6, v33, v10, 0x5040100
	;; [unrolled: 1-line block ×6, first 2 shown]
	ds_write2_b32 v4, v1, v0 offset0:3 offset1:4
	ds_write2_b32 v4, v3, v2 offset0:5 offset1:6
	;; [unrolled: 1-line block ×5, first 2 shown]
.LBB0_7:
	s_or_b32 exec_lo, exec_lo, s0
	v_add_lshl_u32 v45, v27, v41, 2
	s_waitcnt lgkmcnt(0)
	s_barrier
	buffer_gl0_inv
	v_cmp_gt_u16_e64 s0, 52, v41
	v_add_nc_u32_e32 v0, 0x400, v45
	v_add_nc_u32_e32 v1, 0x800, v45
                                        ; implicit-def: $vgpr26
                                        ; implicit-def: $vgpr28
	ds_read2_b32 v[14:15], v45 offset1:143
	ds_read2_b32 v[23:24], v0 offset0:30 offset1:173
	ds_read2_b32 v[21:22], v1 offset0:60 offset1:203
	ds_read_b32 v25, v45 offset:3432
	s_and_saveexec_b32 s1, s0
	s_cbranch_execz .LBB0_9
; %bb.8:
	v_add_nc_u32_e32 v0, 0x500, v45
	v_add_nc_u32_e32 v1, 0xa00, v45
	ds_read2_b32 v[10:11], v45 offset0:91 offset1:234
	ds_read2_b32 v[12:13], v0 offset0:57 offset1:200
	;; [unrolled: 1-line block ×3, first 2 shown]
	ds_read_b32 v26, v45 offset:3796
	s_waitcnt lgkmcnt(3)
	v_lshrrev_b32_e32 v33, 16, v10
	v_lshrrev_b32_e32 v44, 16, v11
	s_waitcnt lgkmcnt(2)
	v_lshrrev_b32_e32 v40, 16, v12
	v_lshrrev_b32_e32 v39, 16, v13
	;; [unrolled: 3-line block ×3, first 2 shown]
	s_waitcnt lgkmcnt(0)
	v_lshrrev_b32_e32 v28, 16, v26
.LBB0_9:
	s_or_b32 exec_lo, exec_lo, s1
	v_and_b32_e32 v0, 0xff, v41
	v_add_nc_u16 v2, v41, 0x5b
	v_mov_b32_e32 v1, 6
	v_mov_b32_e32 v29, 0x5b
	s_waitcnt lgkmcnt(3)
	v_lshrrev_b32_e32 v32, 16, v15
	v_mul_lo_u16 v0, 0x4f, v0
	s_waitcnt lgkmcnt(1)
	v_lshrrev_b32_e32 v36, 16, v21
	v_lshrrev_b32_e32 v35, 16, v23
	;; [unrolled: 1-line block ×3, first 2 shown]
	s_waitcnt lgkmcnt(0)
	v_lshrrev_b32_e32 v50, 16, v25
	v_lshrrev_b16 v30, 10, v0
	v_mul_lo_u16 v0, v30, 13
	v_mul_u32_u24_sdwa v30, v30, v29 dst_sel:DWORD dst_unused:UNUSED_PAD src0_sel:WORD_0 src1_sel:DWORD
	v_sub_nc_u16 v31, v41, v0
	v_and_b32_e32 v0, 0xff, v2
	v_mul_u32_u24_sdwa v3, v31, v1 dst_sel:DWORD dst_unused:UNUSED_PAD src0_sel:BYTE_0 src1_sel:DWORD
	v_mul_lo_u16 v0, 0x4f, v0
	v_add_nc_u32_sdwa v30, v30, v31 dst_sel:DWORD dst_unused:UNUSED_PAD src0_sel:DWORD src1_sel:BYTE_0
	v_lshrrev_b32_e32 v31, 16, v24
	v_lshlrev_b32_e32 v3, 2, v3
	v_lshrrev_b16 v48, 10, v0
	v_add_lshl_u32 v49, v27, v30, 2
	s_clause 0x1
	global_load_dwordx4 v[4:7], v3, s[2:3]
	global_load_dwordx2 v[19:20], v3, s[2:3] offset:16
	v_mul_lo_u16 v0, v48, 13
	v_sub_nc_u16 v47, v2, v0
	v_mul_u32_u24_sdwa v0, v47, v1 dst_sel:DWORD dst_unused:UNUSED_PAD src0_sel:BYTE_0 src1_sel:DWORD
	v_lshlrev_b32_e32 v17, 2, v0
	s_clause 0x1
	global_load_dwordx4 v[0:3], v17, s[2:3]
	global_load_dwordx2 v[17:18], v17, s[2:3] offset:16
	s_load_dwordx4 s[4:7], s[6:7], 0x0
	s_waitcnt vmcnt(0) lgkmcnt(0)
	s_barrier
	buffer_gl0_inv
	v_mul_f16_sdwa v30, v32, v4 dst_sel:DWORD dst_unused:UNUSED_PAD src0_sel:DWORD src1_sel:WORD_1
	v_mul_f16_sdwa v51, v15, v4 dst_sel:DWORD dst_unused:UNUSED_PAD src0_sel:DWORD src1_sel:WORD_1
	;; [unrolled: 1-line block ×12, first 2 shown]
	v_fma_f16 v15, v15, v4, -v30
	v_fmac_f16_e32 v51, v32, v4
	v_fmac_f16_e32 v53, v35, v5
	v_fma_f16 v21, v21, v7, -v56
	v_fmac_f16_e32 v59, v37, v19
	v_fmac_f16_e32 v61, v50, v20
	v_fma_f16 v23, v23, v5, -v52
	v_fma_f16 v24, v24, v6, -v54
	v_fmac_f16_e32 v55, v31, v6
	v_mul_f16_sdwa v30, v44, v0 dst_sel:DWORD dst_unused:UNUSED_PAD src0_sel:DWORD src1_sel:WORD_1
	v_mul_f16_sdwa v56, v9, v17 dst_sel:DWORD dst_unused:UNUSED_PAD src0_sel:DWORD src1_sel:WORD_1
	v_fmac_f16_e32 v57, v36, v7
	v_fma_f16 v22, v22, v19, -v58
	v_fma_f16 v25, v25, v20, -v60
	v_mul_f16_sdwa v31, v11, v0 dst_sel:DWORD dst_unused:UNUSED_PAD src0_sel:DWORD src1_sel:WORD_1
	v_mul_f16_sdwa v32, v40, v1 dst_sel:DWORD dst_unused:UNUSED_PAD src0_sel:DWORD src1_sel:WORD_1
	;; [unrolled: 1-line block ×10, first 2 shown]
	v_fma_f16 v11, v11, v0, -v30
	v_fmac_f16_e32 v56, v34, v17
	v_add_f16_e32 v30, v51, v61
	v_add_f16_e32 v34, v53, v59
	v_fmac_f16_e32 v31, v44, v0
	v_fma_f16 v12, v12, v1, -v32
	v_fmac_f16_e32 v35, v40, v1
	v_fma_f16 v13, v13, v2, -v36
	;; [unrolled: 2-line block ×4, first 2 shown]
	v_fma_f16 v26, v26, v18, -v58
	v_fmac_f16_e32 v60, v28, v18
	v_add_f16_e32 v28, v15, v25
	v_sub_f16_e32 v15, v15, v25
	v_sub_f16_e32 v25, v51, v61
	v_add_f16_e32 v32, v23, v22
	v_sub_f16_e32 v22, v23, v22
	v_sub_f16_e32 v23, v53, v59
	v_add_f16_e32 v36, v24, v21
	v_add_f16_e32 v38, v55, v57
	v_sub_f16_e32 v21, v21, v24
	v_sub_f16_e32 v24, v57, v55
	v_add_f16_e32 v40, v34, v30
	v_add_f16_e32 v39, v32, v28
	v_sub_f16_e32 v44, v32, v28
	v_sub_f16_e32 v50, v34, v30
	;; [unrolled: 1-line block ×6, first 2 shown]
	v_add_f16_e32 v51, v21, v22
	v_add_f16_e32 v53, v24, v23
	v_sub_f16_e32 v54, v21, v22
	v_sub_f16_e32 v55, v24, v23
	;; [unrolled: 1-line block ×4, first 2 shown]
	v_add_f16_e32 v57, v11, v26
	v_add_f16_e32 v58, v31, v60
	v_sub_f16_e32 v11, v11, v26
	v_sub_f16_e32 v26, v31, v60
	v_add_f16_e32 v31, v12, v9
	v_add_f16_e32 v59, v35, v56
	v_sub_f16_e32 v9, v12, v9
	v_sub_f16_e32 v12, v35, v56
	;; [unrolled: 4-line block ×3, first 2 shown]
	v_add_f16_e32 v37, v38, v40
	v_sub_f16_e32 v21, v15, v21
	v_sub_f16_e32 v24, v25, v24
	v_add_f16_e32 v36, v36, v39
	v_add_f16_e32 v15, v51, v15
	;; [unrolled: 1-line block ×3, first 2 shown]
	v_mul_f16_e32 v28, 0x3a52, v28
	v_mul_f16_e32 v30, 0x3a52, v30
	;; [unrolled: 1-line block ×8, first 2 shown]
	v_add_f16_e32 v54, v31, v57
	v_add_f16_e32 v55, v59, v58
	v_sub_f16_e32 v60, v31, v57
	v_sub_f16_e32 v61, v59, v58
	;; [unrolled: 1-line block ×6, first 2 shown]
	v_add_f16_e32 v62, v8, v9
	v_sub_f16_e32 v64, v8, v9
	v_sub_f16_e32 v65, v13, v12
	;; [unrolled: 1-line block ×3, first 2 shown]
	v_add_f16_sdwa v70, v37, v14 dst_sel:DWORD dst_unused:UNUSED_PAD src0_sel:DWORD src1_sel:WORD_1
	v_add_f16_e32 v63, v13, v12
	v_sub_f16_e32 v66, v11, v8
	v_sub_f16_e32 v13, v26, v13
	;; [unrolled: 1-line block ×3, first 2 shown]
	v_add_f16_e32 v69, v36, v14
	v_fmamk_f16 v32, v32, 0x2b26, v28
	v_fmamk_f16 v34, v34, 0x2b26, v30
	v_fma_f16 v38, v44, 0x39e0, -v38
	v_fma_f16 v39, v50, 0x39e0, -v39
	;; [unrolled: 1-line block ×4, first 2 shown]
	v_fmamk_f16 v44, v21, 0x3574, v40
	v_fmamk_f16 v50, v24, 0x3574, v51
	v_fma_f16 v22, v22, 0x3b00, -v40
	v_fma_f16 v40, v23, 0x3b00, -v51
	;; [unrolled: 1-line block ×4, first 2 shown]
	v_add_f16_e32 v23, v35, v54
	v_add_f16_e32 v35, v56, v55
	;; [unrolled: 1-line block ×3, first 2 shown]
	v_mul_f16_e32 v11, 0x3a52, v57
	v_mul_f16_e32 v12, 0x3a52, v58
	;; [unrolled: 1-line block ×7, first 2 shown]
	v_lshlrev_b32_e32 v57, 16, v70
	v_add_f16_e32 v26, v63, v26
	v_mul_f16_e32 v55, 0x3b00, v67
	v_fmac_f16_e32 v70, 0xbcab, v37
	v_fmac_f16_e32 v50, 0x370e, v25
	;; [unrolled: 1-line block ×4, first 2 shown]
	v_add_f16_e32 v8, v10, v23
	v_add_f16_e32 v9, v33, v35
	v_fmamk_f16 v25, v31, 0x2b26, v11
	v_fmamk_f16 v31, v59, 0x2b26, v12
	v_fma_f16 v33, v60, 0x39e0, -v14
	v_fma_f16 v37, v61, 0x39e0, -v52
	;; [unrolled: 1-line block ×4, first 2 shown]
	v_fmamk_f16 v11, v66, 0x3574, v53
	v_fmamk_f16 v12, v13, 0x3574, v54
	v_fma_f16 v14, v67, 0x3b00, -v53
	v_fma_f16 v10, v68, 0x3b00, -v54
	;; [unrolled: 1-line block ×3, first 2 shown]
	v_or_b32_sdwa v53, v57, v69 dst_sel:DWORD dst_unused:UNUSED_PAD src0_sel:DWORD src1_sel:WORD_0
	v_fmac_f16_e32 v69, 0xbcab, v36
	v_fmac_f16_e32 v44, 0x370e, v15
	;; [unrolled: 1-line block ×4, first 2 shown]
	v_fma_f16 v15, v66, 0xb574, -v55
	v_add_f16_e32 v34, v34, v70
	v_add_f16_e32 v36, v39, v70
	;; [unrolled: 1-line block ×3, first 2 shown]
	v_fmamk_f16 v39, v23, 0xbcab, v8
	v_fmamk_f16 v35, v35, 0xbcab, v9
	v_fmac_f16_e32 v12, 0x370e, v26
	v_fmac_f16_e32 v10, 0x370e, v26
	;; [unrolled: 1-line block ×3, first 2 shown]
	v_add_f16_e32 v26, v32, v69
	v_add_f16_e32 v32, v38, v69
	;; [unrolled: 1-line block ×3, first 2 shown]
	v_fmac_f16_e32 v11, 0x370e, v51
	v_fmac_f16_e32 v14, 0x370e, v51
	;; [unrolled: 1-line block ×3, first 2 shown]
	v_sub_f16_e32 v54, v34, v44
	v_sub_f16_e32 v55, v30, v21
	v_add_f16_e32 v56, v22, v36
	v_sub_f16_e32 v36, v36, v22
	v_add_f16_e32 v57, v21, v30
	v_add_f16_e32 v22, v25, v39
	;; [unrolled: 1-line block ×9, first 2 shown]
	v_sub_f16_e32 v37, v32, v40
	v_add_f16_e32 v32, v40, v32
	v_sub_f16_e32 v38, v38, v24
	v_add_f16_e32 v34, v44, v34
	;; [unrolled: 2-line block ×3, first 2 shown]
	v_sub_f16_e32 v52, v30, v14
	v_sub_f16_e32 v26, v28, v13
	v_add_f16_e32 v51, v15, v31
	v_sub_f16_e32 v24, v22, v12
	v_pack_b32_f16 v33, v33, v54
	v_add_f16_e32 v50, v11, v23
	v_pack_b32_f16 v35, v35, v55
	v_pack_b32_f16 v37, v37, v56
	;; [unrolled: 1-line block ×5, first 2 shown]
	ds_write2_b32 v49, v53, v33 offset1:13
	ds_write2_b32 v49, v35, v37 offset0:26 offset1:39
	ds_write2_b32 v49, v32, v36 offset0:52 offset1:65
	ds_write_b32 v49, v34 offset:312
	s_and_saveexec_b32 s1, s0
	s_cbranch_execz .LBB0_11
; %bb.10:
	v_mul_u32_u24_sdwa v29, v48, v29 dst_sel:DWORD dst_unused:UNUSED_PAD src0_sel:WORD_0 src1_sel:DWORD
	v_sub_f16_e32 v11, v23, v11
	v_add_f16_e32 v12, v12, v22
	v_add_f16_e32 v14, v14, v30
	v_sub_f16_e32 v15, v31, v15
	v_add_nc_u32_sdwa v22, v29, v47 dst_sel:DWORD dst_unused:UNUSED_PAD src0_sel:DWORD src1_sel:BYTE_0
	v_add_f16_e32 v13, v13, v28
	v_sub_f16_e32 v10, v21, v10
	v_perm_b32 v8, v9, v8, 0x5040100
	v_pack_b32_f16 v9, v12, v11
	v_add_lshl_u32 v11, v27, v22, 2
	v_pack_b32_f16 v12, v13, v15
	v_pack_b32_f16 v10, v10, v14
	v_perm_b32 v13, v52, v25, 0x5040100
	v_perm_b32 v14, v51, v26, 0x5040100
	;; [unrolled: 1-line block ×3, first 2 shown]
	ds_write2_b32 v11, v8, v9 offset1:13
	ds_write2_b32 v11, v12, v10 offset0:26 offset1:39
	ds_write2_b32 v11, v13, v14 offset0:52 offset1:65
	ds_write_b32 v11, v15 offset:312
.LBB0_11:
	s_or_b32 exec_lo, exec_lo, s1
	v_mad_u64_u32 v[21:22], null, v41, 40, s[2:3]
	s_waitcnt lgkmcnt(0)
	s_barrier
	buffer_gl0_inv
	v_add_nc_u32_e32 v23, 0x400, v45
	v_add_nc_u32_e32 v31, 0x600, v45
	;; [unrolled: 1-line block ×3, first 2 shown]
	s_clause 0x2
	global_load_dwordx4 v[12:15], v[21:22], off offset:312
	global_load_dwordx4 v[8:11], v[21:22], off offset:328
	global_load_dwordx2 v[21:22], v[21:22], off offset:344
	ds_read2_b32 v[27:28], v45 offset0:91 offset1:182
	ds_read2_b32 v[29:30], v23 offset0:17 offset1:108
	v_add_nc_u32_e32 v23, 0xc00, v45
	ds_read2_b32 v[31:32], v31 offset0:71 offset1:162
	ds_read2_b32 v[33:34], v33 offset0:125 offset1:216
	ds_read2_b32 v[35:36], v23 offset0:51 offset1:142
	ds_read_b32 v39, v45
	v_lshl_add_u32 v44, v41, 2, v43
	v_add_nc_u32_e32 v23, 0x400, v44
	v_add_nc_u32_e32 v37, 0x800, v44
	;; [unrolled: 1-line block ×4, first 2 shown]
	s_waitcnt lgkmcnt(5)
	v_lshrrev_b32_e32 v53, 16, v27
	v_lshrrev_b32_e32 v54, 16, v28
	s_waitcnt lgkmcnt(4)
	v_lshrrev_b32_e32 v55, 16, v29
	v_lshrrev_b32_e32 v56, 16, v30
	s_waitcnt lgkmcnt(3)
	v_lshrrev_b32_e32 v57, 16, v31
	s_waitcnt lgkmcnt(1)
	v_lshrrev_b32_e32 v61, 16, v35
	v_lshrrev_b32_e32 v62, 16, v36
	;; [unrolled: 1-line block ×5, first 2 shown]
	s_waitcnt vmcnt(2)
	v_mul_f16_sdwa v63, v53, v12 dst_sel:DWORD dst_unused:UNUSED_PAD src0_sel:DWORD src1_sel:WORD_1
	v_mul_f16_sdwa v64, v27, v12 dst_sel:DWORD dst_unused:UNUSED_PAD src0_sel:DWORD src1_sel:WORD_1
	;; [unrolled: 1-line block ×4, first 2 shown]
	s_waitcnt vmcnt(1)
	v_mul_f16_sdwa v72, v31, v8 dst_sel:DWORD dst_unused:UNUSED_PAD src0_sel:DWORD src1_sel:WORD_1
	s_waitcnt vmcnt(0)
	v_mul_f16_sdwa v79, v61, v21 dst_sel:DWORD dst_unused:UNUSED_PAD src0_sel:DWORD src1_sel:WORD_1
	v_mul_f16_sdwa v81, v62, v22 dst_sel:DWORD dst_unused:UNUSED_PAD src0_sel:DWORD src1_sel:WORD_1
	;; [unrolled: 1-line block ×3, first 2 shown]
	v_fma_f16 v27, v27, v12, -v63
	v_fmac_f16_e32 v64, v53, v12
	v_mul_f16_sdwa v67, v55, v14 dst_sel:DWORD dst_unused:UNUSED_PAD src0_sel:DWORD src1_sel:WORD_1
	v_mul_f16_sdwa v68, v29, v14 dst_sel:DWORD dst_unused:UNUSED_PAD src0_sel:DWORD src1_sel:WORD_1
	;; [unrolled: 1-line block ×12, first 2 shown]
	v_fma_f16 v28, v28, v13, -v65
	v_fmac_f16_e32 v66, v54, v13
	v_fmac_f16_e32 v72, v57, v8
	v_fma_f16 v57, v35, v21, -v79
	v_fma_f16 v65, v36, v22, -v81
	v_fmac_f16_e32 v82, v62, v22
	s_waitcnt lgkmcnt(0)
	v_add_f16_e32 v35, v27, v39
	v_add_f16_sdwa v36, v64, v39 dst_sel:DWORD dst_unused:UNUSED_PAD src0_sel:DWORD src1_sel:WORD_1
	v_fma_f16 v29, v29, v14, -v67
	v_fmac_f16_e32 v68, v55, v14
	v_fma_f16 v30, v30, v15, -v69
	v_fmac_f16_e32 v70, v56, v15
	v_fma_f16 v31, v31, v8, -v71
	v_fma_f16 v32, v32, v9, -v73
	v_fmac_f16_e32 v74, v58, v9
	v_fma_f16 v33, v33, v10, -v75
	v_fmac_f16_e32 v76, v59, v10
	;; [unrolled: 2-line block ×3, first 2 shown]
	v_fmac_f16_e32 v80, v61, v21
	v_add_f16_e32 v53, v27, v65
	v_sub_f16_e32 v27, v27, v65
	v_sub_f16_e32 v55, v64, v82
	v_add_f16_e32 v56, v28, v57
	v_sub_f16_e32 v59, v28, v57
	v_add_f16_e32 v28, v35, v28
	v_add_f16_e32 v35, v36, v66
	;; [unrolled: 1-line block ×4, first 2 shown]
	v_sub_f16_e32 v60, v66, v80
	v_add_f16_e32 v61, v29, v34
	v_sub_f16_e32 v63, v29, v34
	v_sub_f16_e32 v64, v68, v78
	;; [unrolled: 1-line block ×6, first 2 shown]
	v_mul_f16_e32 v36, 0xb853, v55
	v_mul_f16_e32 v66, 0xb853, v27
	;; [unrolled: 1-line block ×10, first 2 shown]
	v_add_f16_e32 v28, v28, v29
	v_add_f16_e32 v29, v35, v68
	;; [unrolled: 1-line block ×7, first 2 shown]
	v_mul_f16_e32 v89, 0xbb47, v60
	v_mul_f16_e32 v90, 0xbb47, v59
	;; [unrolled: 1-line block ×40, first 2 shown]
	v_fma_f16 v35, v53, 0x3abb, -v36
	v_fmamk_f16 v68, v54, 0x3abb, v66
	v_fmac_f16_e32 v36, 0x3abb, v53
	v_fma_f16 v66, v54, 0x3abb, -v66
	v_fma_f16 v121, v53, 0x36a6, -v83
	v_fmamk_f16 v122, v54, 0x36a6, v84
	v_fmac_f16_e32 v83, 0x36a6, v53
	v_fma_f16 v84, v54, 0x36a6, -v84
	;; [unrolled: 4-line block ×4, first 2 shown]
	v_fma_f16 v127, v53, 0xbbad, -v55
	v_fmamk_f16 v128, v54, 0xbbad, v27
	v_add_f16_e32 v28, v28, v30
	v_add_f16_e32 v29, v29, v70
	v_fmac_f16_e32 v55, 0xbbad, v53
	v_fma_f16 v27, v54, 0xbbad, -v27
	v_fma_f16 v53, v56, 0x36a6, -v89
	v_fmamk_f16 v54, v58, 0x36a6, v90
	v_fmac_f16_e32 v89, 0x36a6, v56
	v_fma_f16 v90, v58, 0x36a6, -v90
	v_fma_f16 v129, v56, 0xb93d, -v91
	v_fmamk_f16 v130, v58, 0xb93d, v92
	;; [unrolled: 4-line block ×20, first 2 shown]
	v_fmac_f16_e32 v81, 0xb08e, v75
	v_fma_f16 v75, v77, 0xb08e, -v79
	v_add_f16_e32 v30, v35, v39
	v_add_f16_sdwa v35, v68, v39 dst_sel:DWORD dst_unused:UNUSED_PAD src0_sel:DWORD src1_sel:WORD_1
	v_add_f16_e32 v36, v36, v39
	v_add_f16_sdwa v66, v66, v39 dst_sel:DWORD dst_unused:UNUSED_PAD src0_sel:DWORD src1_sel:WORD_1
	;; [unrolled: 2-line block ×9, first 2 shown]
	v_add_f16_e32 v28, v28, v31
	v_add_f16_e32 v29, v29, v72
	;; [unrolled: 1-line block ×3, first 2 shown]
	v_add_f16_sdwa v27, v27, v39 dst_sel:DWORD dst_unused:UNUSED_PAD src0_sel:DWORD src1_sel:WORD_1
	v_add_f16_e32 v30, v53, v30
	v_add_f16_e32 v31, v54, v35
	;; [unrolled: 1-line block ×71, first 2 shown]
	v_add_f16_sdwa v62, v62, v82 dst_sel:WORD_1 dst_unused:UNUSED_PAD src0_sel:DWORD src1_sel:DWORD
	v_add_f16_e32 v29, v69, v30
	v_add_f16_e32 v63, v71, v31
	;; [unrolled: 1-line block ×18, first 2 shown]
	v_or_b32_sdwa v62, v62, v39 dst_sel:DWORD dst_unused:UNUSED_PAD src0_sel:DWORD src1_sel:WORD_0
	v_pack_b32_f16 v64, v29, v63
	v_pack_b32_f16 v66, v30, v61
	;; [unrolled: 1-line block ×10, first 2 shown]
	ds_write_b32 v44, v62
	ds_write2_b32 v44, v64, v66 offset0:91 offset1:182
	ds_write2_b32 v23, v65, v67 offset0:17 offset1:108
	;; [unrolled: 1-line block ×5, first 2 shown]
	s_waitcnt lgkmcnt(0)
	s_barrier
	buffer_gl0_inv
	s_and_saveexec_b32 s2, vcc_lo
	s_cbranch_execz .LBB0_13
; %bb.12:
	v_add_co_u32 v64, s1, s10, v42
	v_add_co_ci_u32_e64 v65, null, s11, 0, s1
	v_add_nc_u32_e32 v86, 0x200, v44
	v_add_co_u32 v39, s1, 0x800, v64
	v_add_co_ci_u32_e64 v40, s1, 0, v65, s1
	v_add_nc_u32_e32 v87, 0xa00, v44
	global_load_dword v66, v[39:40], off offset:1956
	v_add_co_u32 v39, s1, 0xfa4, v64
	v_add_co_ci_u32_e64 v40, s1, 0, v65, s1
	v_add_co_u32 v64, s1, 0x1800, v64
	s_clause 0x1
	global_load_dword v74, v[39:40], off offset:308
	global_load_dword v75, v[39:40], off offset:616
	v_add_co_ci_u32_e64 v65, s1, 0, v65, s1
	s_clause 0x9
	global_load_dword v76, v[39:40], off offset:924
	global_load_dword v77, v[39:40], off offset:1232
	;; [unrolled: 1-line block ×10, first 2 shown]
	ds_read_b32 v39, v44
	s_waitcnt lgkmcnt(0)
	v_lshrrev_b32_e32 v40, 16, v39
	s_waitcnt vmcnt(12)
	v_mul_f16_sdwa v64, v40, v66 dst_sel:DWORD dst_unused:UNUSED_PAD src0_sel:DWORD src1_sel:WORD_1
	v_mul_f16_sdwa v65, v39, v66 dst_sel:DWORD dst_unused:UNUSED_PAD src0_sel:DWORD src1_sel:WORD_1
	v_fma_f16 v39, v39, v66, -v64
	v_fmac_f16_e32 v65, v40, v66
	v_pack_b32_f16 v39, v39, v65
	ds_write_b32 v44, v39
	ds_read2_b32 v[39:40], v44 offset0:77 offset1:154
	ds_read2_b32 v[64:65], v86 offset0:103 offset1:180
	;; [unrolled: 1-line block ×6, first 2 shown]
	s_waitcnt lgkmcnt(5)
	v_lshrrev_b32_e32 v88, 16, v39
	s_waitcnt vmcnt(11)
	v_mul_f16_sdwa v89, v39, v74 dst_sel:DWORD dst_unused:UNUSED_PAD src0_sel:DWORD src1_sel:WORD_1
	v_lshrrev_b32_e32 v90, 16, v40
	s_waitcnt vmcnt(10)
	v_mul_f16_sdwa v91, v40, v75 dst_sel:DWORD dst_unused:UNUSED_PAD src0_sel:DWORD src1_sel:WORD_1
	s_waitcnt lgkmcnt(4)
	v_lshrrev_b32_e32 v92, 16, v64
	s_waitcnt vmcnt(9)
	v_mul_f16_sdwa v93, v64, v76 dst_sel:DWORD dst_unused:UNUSED_PAD src0_sel:DWORD src1_sel:WORD_1
	v_lshrrev_b32_e32 v94, 16, v65
	s_waitcnt vmcnt(8)
	v_mul_f16_sdwa v95, v65, v77 dst_sel:DWORD dst_unused:UNUSED_PAD src0_sel:DWORD src1_sel:WORD_1
	s_waitcnt lgkmcnt(3)
	v_lshrrev_b32_e32 v96, 16, v66
	s_waitcnt vmcnt(7)
	v_mul_f16_sdwa v97, v66, v78 dst_sel:DWORD dst_unused:UNUSED_PAD src0_sel:DWORD src1_sel:WORD_1
	v_lshrrev_b32_e32 v98, 16, v67
	s_waitcnt vmcnt(5)
	v_mul_f16_sdwa v99, v67, v80 dst_sel:DWORD dst_unused:UNUSED_PAD src0_sel:DWORD src1_sel:WORD_1
	s_waitcnt lgkmcnt(2)
	v_lshrrev_b32_e32 v100, 16, v68
	v_mul_f16_sdwa v101, v68, v79 dst_sel:DWORD dst_unused:UNUSED_PAD src0_sel:DWORD src1_sel:WORD_1
	v_lshrrev_b32_e32 v102, 16, v69
	s_waitcnt vmcnt(4)
	v_mul_f16_sdwa v103, v69, v81 dst_sel:DWORD dst_unused:UNUSED_PAD src0_sel:DWORD src1_sel:WORD_1
	s_waitcnt lgkmcnt(1)
	v_lshrrev_b32_e32 v104, 16, v70
	s_waitcnt vmcnt(3)
	v_mul_f16_sdwa v105, v70, v82 dst_sel:DWORD dst_unused:UNUSED_PAD src0_sel:DWORD src1_sel:WORD_1
	v_lshrrev_b32_e32 v106, 16, v71
	s_waitcnt vmcnt(2)
	v_mul_f16_sdwa v107, v71, v83 dst_sel:DWORD dst_unused:UNUSED_PAD src0_sel:DWORD src1_sel:WORD_1
	s_waitcnt lgkmcnt(0)
	v_lshrrev_b32_e32 v108, 16, v72
	s_waitcnt vmcnt(1)
	v_mul_f16_sdwa v109, v72, v84 dst_sel:DWORD dst_unused:UNUSED_PAD src0_sel:DWORD src1_sel:WORD_1
	v_lshrrev_b32_e32 v110, 16, v73
	v_mul_f16_sdwa v112, v88, v74 dst_sel:DWORD dst_unused:UNUSED_PAD src0_sel:DWORD src1_sel:WORD_1
	v_fmac_f16_e32 v89, v88, v74
	v_mul_f16_sdwa v88, v90, v75 dst_sel:DWORD dst_unused:UNUSED_PAD src0_sel:DWORD src1_sel:WORD_1
	v_fmac_f16_e32 v91, v90, v75
	;; [unrolled: 2-line block ×9, first 2 shown]
	v_mul_f16_sdwa v104, v106, v83 dst_sel:DWORD dst_unused:UNUSED_PAD src0_sel:DWORD src1_sel:WORD_1
	s_waitcnt vmcnt(0)
	v_mul_f16_sdwa v111, v73, v85 dst_sel:DWORD dst_unused:UNUSED_PAD src0_sel:DWORD src1_sel:WORD_1
	v_fmac_f16_e32 v107, v106, v83
	v_mul_f16_sdwa v106, v108, v84 dst_sel:DWORD dst_unused:UNUSED_PAD src0_sel:DWORD src1_sel:WORD_1
	v_fmac_f16_e32 v109, v108, v84
	v_mul_f16_sdwa v108, v110, v85 dst_sel:DWORD dst_unused:UNUSED_PAD src0_sel:DWORD src1_sel:WORD_1
	v_fma_f16 v39, v39, v74, -v112
	v_fma_f16 v40, v40, v75, -v88
	;; [unrolled: 1-line block ×10, first 2 shown]
	v_fmac_f16_e32 v111, v110, v85
	v_fma_f16 v72, v72, v84, -v106
	v_fma_f16 v73, v73, v85, -v108
	v_pack_b32_f16 v39, v39, v89
	v_pack_b32_f16 v40, v40, v91
	;; [unrolled: 1-line block ×12, first 2 shown]
	ds_write2_b32 v44, v39, v40 offset0:77 offset1:154
	ds_write2_b32 v86, v64, v65 offset0:103 offset1:180
	;; [unrolled: 1-line block ×6, first 2 shown]
.LBB0_13:
	s_or_b32 exec_lo, exec_lo, s2
	s_waitcnt lgkmcnt(0)
	s_barrier
	buffer_gl0_inv
	s_and_saveexec_b32 s1, vcc_lo
	s_cbranch_execz .LBB0_15
; %bb.14:
	v_add_nc_u32_e32 v23, 0x200, v44
	v_add_nc_u32_e32 v25, 0x400, v44
	v_add_nc_u32_e32 v26, 0x800, v44
	ds_read2_b32 v[29:30], v44 offset0:77 offset1:154
	ds_read2_b32 v[31:32], v23 offset0:103 offset1:180
	v_add_nc_u32_e32 v23, 0xa00, v44
	ds_read2_b32 v[35:36], v25 offset0:129 offset1:206
	v_add_nc_u32_e32 v25, 0xc00, v44
	ds_read2_b32 v[33:34], v26 offset0:27 offset1:104
	ds_read2_b32 v[27:28], v23 offset0:53 offset1:130
	;; [unrolled: 1-line block ×3, first 2 shown]
	ds_read_b32 v62, v44
	s_waitcnt lgkmcnt(6)
	v_lshrrev_b32_e32 v63, 16, v29
	v_lshrrev_b32_e32 v61, 16, v30
	s_waitcnt lgkmcnt(5)
	v_lshrrev_b32_e32 v60, 16, v31
	v_lshrrev_b32_e32 v59, 16, v32
	;; [unrolled: 3-line block ×6, first 2 shown]
.LBB0_15:
	s_or_b32 exec_lo, exec_lo, s1
	v_sub_f16_e32 v23, v63, v51
	v_add_f16_e32 v37, v51, v63
	v_add_f16_e32 v112, v26, v29
	v_sub_f16_e32 v113, v29, v26
	v_add_f16_e32 v77, v52, v61
	v_mul_f16_e32 v92, 0xb94e, v23
	v_mul_f16_e32 v71, 0xb770, v23
	;; [unrolled: 1-line block ×7, first 2 shown]
	v_fma_f16 v69, v112, 0xb9fd, -v92
	v_mul_f16_e32 v97, 0xb9fd, v37
	v_mul_f16_e32 v110, 0xbbc4, v37
	v_sub_f16_e32 v37, v61, v52
	v_fma_f16 v38, v112, 0x3b15, -v71
	v_fma_f16 v40, v112, 0x388b, -v75
	v_mul_f16_e32 v79, 0xbbf1, v23
	v_fmamk_f16 v64, v113, 0xba95, v76
	v_mul_f16_e32 v84, 0xbb7b, v23
	v_mul_f16_e32 v102, 0xb3a8, v23
	s_waitcnt lgkmcnt(0)
	v_add_f16_e32 v23, v69, v62
	v_fmamk_f16 v69, v113, 0xb94e, v97
	v_fmamk_f16 v74, v113, 0xb3a8, v110
	v_add_f16_e32 v124, v25, v30
	v_mul_f16_e32 v73, 0xba95, v37
	v_sub_f16_e32 v125, v30, v25
	v_mul_f16_e32 v80, 0xbb7b, v37
	v_mul_f16_e32 v81, 0xb5ac, v77
	;; [unrolled: 1-line block ×3, first 2 shown]
	v_fmamk_f16 v39, v113, 0xb770, v72
	v_add_f16_e32 v38, v38, v62
	v_add_f16_e32 v40, v40, v62
	v_add_f16_sdwa v64, v64, v62 dst_sel:DWORD dst_unused:UNUSED_PAD src0_sel:DWORD src1_sel:WORD_1
	v_fmamk_f16 v68, v113, 0xbb7b, v87
	v_add_f16_sdwa v69, v69, v62 dst_sel:DWORD dst_unused:UNUSED_PAD src0_sel:DWORD src1_sel:WORD_1
	v_add_f16_sdwa v83, v74, v62 dst_sel:DWORD dst_unused:UNUSED_PAD src0_sel:DWORD src1_sel:WORD_1
	v_fma_f16 v78, v124, 0x388b, -v73
	v_mul_f16_e32 v74, 0x388b, v77
	v_mul_f16_e32 v86, 0xb3a8, v37
	v_fma_f16 v85, v124, 0xb5ac, -v80
	v_fmamk_f16 v88, v125, 0xbb7b, v81
	v_mul_f16_e32 v95, 0x394e, v37
	v_mul_f16_e32 v98, 0xb9fd, v77
	;; [unrolled: 1-line block ×4, first 2 shown]
	v_fmamk_f16 v37, v125, 0x3bf1, v111
	v_add_f16_sdwa v39, v39, v62 dst_sel:DWORD dst_unused:UNUSED_PAD src0_sel:DWORD src1_sel:WORD_1
	v_fmamk_f16 v66, v113, 0xbbf1, v82
	v_add_f16_sdwa v68, v68, v62 dst_sel:DWORD dst_unused:UNUSED_PAD src0_sel:DWORD src1_sel:WORD_1
	v_add_f16_e32 v38, v78, v38
	v_fmamk_f16 v78, v125, 0xba95, v74
	v_mul_f16_e32 v90, 0xbbc4, v77
	v_add_f16_e32 v40, v85, v40
	v_add_f16_e32 v64, v88, v64
	v_fmamk_f16 v85, v125, 0x394e, v98
	v_fma_f16 v88, v124, 0x2fb7, -v106
	v_add_f16_e32 v37, v37, v69
	v_mul_f16_e32 v123, 0x3b15, v77
	v_sub_f16_e32 v69, v60, v53
	v_fma_f16 v65, v112, 0x2fb7, -v79
	v_fma_f16 v67, v112, 0xb5ac, -v84
	v_add_f16_sdwa v66, v66, v62 dst_sel:DWORD dst_unused:UNUSED_PAD src0_sel:DWORD src1_sel:WORD_1
	v_add_f16_e32 v39, v78, v39
	v_fmamk_f16 v78, v125, 0xb3a8, v90
	v_add_f16_e32 v68, v85, v68
	v_add_f16_e32 v23, v88, v23
	;; [unrolled: 1-line block ×4, first 2 shown]
	v_mul_f16_e32 v77, 0xbbf1, v69
	v_fmamk_f16 v91, v125, 0x3770, v123
	v_mul_f16_e32 v88, 0xb3a8, v69
	v_add_f16_e32 v65, v65, v62
	v_add_f16_e32 v67, v67, v62
	v_fma_f16 v70, v112, 0xbbc4, -v102
	v_fma_f16 v89, v124, 0xbbc4, -v86
	v_add_f16_e32 v66, v78, v66
	v_fma_f16 v78, v124, 0xb9fd, -v95
	v_sub_f16_e32 v134, v31, v28
	v_fma_f16 v93, v133, 0x2fb7, -v77
	v_add_f16_e32 v91, v91, v83
	v_fma_f16 v83, v133, 0xbbc4, -v88
	v_mul_f16_e32 v96, 0x3b7b, v69
	v_mul_f16_e32 v100, 0xb5ac, v85
	v_add_f16_e32 v70, v70, v62
	v_add_f16_e32 v65, v89, v65
	;; [unrolled: 1-line block ×3, first 2 shown]
	v_fma_f16 v78, v124, 0x3b15, -v116
	v_mul_f16_e32 v89, 0xbbc4, v85
	v_add_f16_e32 v38, v93, v38
	v_add_f16_e32 v40, v83, v40
	v_fma_f16 v83, v133, 0xb5ac, -v96
	v_mul_f16_e32 v114, 0x3b15, v85
	v_fmamk_f16 v93, v134, 0x3b7b, v100
	v_add_f16_e32 v70, v78, v70
	v_mul_f16_e32 v78, 0x2fb7, v85
	v_fmamk_f16 v99, v134, 0xb3a8, v89
	v_mul_f16_e32 v119, 0xba95, v69
	v_add_f16_e32 v65, v83, v65
	v_fmamk_f16 v83, v134, 0x3770, v114
	v_add_f16_e32 v66, v93, v66
	v_mul_f16_e32 v122, 0x388b, v85
	v_sub_f16_e32 v93, v59, v54
	v_fmamk_f16 v94, v134, 0xbbf1, v78
	v_add_f16_e32 v64, v99, v64
	v_mul_f16_e32 v104, 0x3770, v69
	v_fma_f16 v99, v133, 0x388b, -v119
	v_add_f16_e32 v68, v83, v68
	v_mul_f16_e32 v130, 0xb94e, v69
	v_fmamk_f16 v69, v134, 0xba95, v122
	v_add_f16_e32 v140, v27, v32
	v_mul_f16_e32 v83, 0xbb7b, v93
	v_add_f16_e32 v39, v94, v39
	v_fma_f16 v94, v133, 0x3b15, -v104
	v_add_f16_e32 v23, v99, v23
	v_mul_f16_e32 v136, 0xb9fd, v85
	v_fma_f16 v85, v133, 0xb9fd, -v130
	v_add_f16_e32 v37, v69, v37
	v_add_f16_e32 v69, v54, v59
	v_fma_f16 v99, v140, 0xb5ac, -v83
	v_add_f16_e32 v67, v94, v67
	v_fmamk_f16 v94, v134, 0xb94e, v136
	v_add_f16_e32 v70, v85, v70
	v_sub_f16_e32 v143, v32, v27
	v_mul_f16_e32 v85, 0xb5ac, v69
	v_add_f16_e32 v38, v99, v38
	v_mul_f16_e32 v99, 0xb9fd, v69
	v_add_f16_e32 v105, v94, v91
	v_mul_f16_e32 v91, 0x394e, v93
	v_fmamk_f16 v94, v143, 0xbb7b, v85
	v_mul_f16_e32 v107, 0x3770, v93
	v_mul_f16_e32 v115, 0x3b15, v69
	v_fmamk_f16 v103, v143, 0x394e, v99
	v_mul_f16_e32 v137, 0x3a95, v93
	v_fma_f16 v101, v140, 0xb9fd, -v91
	v_add_f16_e32 v39, v94, v39
	v_fma_f16 v94, v140, 0x3b15, -v107
	v_fmamk_f16 v108, v143, 0x3770, v115
	v_add_f16_e32 v64, v103, v64
	v_mul_f16_e32 v121, 0xbbf1, v93
	v_mul_f16_e32 v126, 0x2fb7, v69
	;; [unrolled: 1-line block ×3, first 2 shown]
	v_fma_f16 v103, v140, 0x388b, -v137
	v_add_f16_e32 v40, v101, v40
	v_add_f16_e32 v65, v94, v65
	;; [unrolled: 1-line block ×3, first 2 shown]
	v_fma_f16 v94, v140, 0x2fb7, -v121
	v_mul_f16_e32 v132, 0xbbc4, v69
	v_fmamk_f16 v93, v143, 0xbbf1, v126
	v_fma_f16 v101, v140, 0xbbc4, -v129
	v_mul_f16_e32 v142, 0x388b, v69
	v_add_f16_e32 v69, v103, v70
	v_sub_f16_e32 v70, v58, v55
	v_add_f16_e32 v108, v55, v58
	v_add_f16_e32 v67, v94, v67
	v_fmamk_f16 v94, v143, 0x33a8, v132
	v_add_f16_e32 v68, v93, v68
	v_add_f16_e32 v23, v101, v23
	v_fmamk_f16 v109, v143, 0x3a95, v142
	v_add_f16_e32 v147, v34, v35
	v_sub_f16_e32 v148, v35, v34
	v_mul_f16_e32 v93, 0xb94e, v70
	v_mul_f16_e32 v101, 0x3bf1, v70
	;; [unrolled: 1-line block ×3, first 2 shown]
	v_add_f16_e32 v37, v94, v37
	v_mul_f16_e32 v94, 0xb9fd, v108
	v_add_f16_e32 v109, v109, v105
	v_fma_f16 v105, v147, 0xb9fd, -v93
	v_fma_f16 v118, v147, 0x2fb7, -v101
	v_fmamk_f16 v127, v148, 0x3bf1, v103
	v_mul_f16_e32 v120, 0xba95, v70
	v_mul_f16_e32 v139, 0x3770, v70
	v_fmamk_f16 v117, v148, 0xb94e, v94
	v_add_f16_e32 v38, v105, v38
	v_add_f16_e32 v40, v118, v40
	;; [unrolled: 1-line block ×3, first 2 shown]
	v_fma_f16 v105, v147, 0x388b, -v120
	v_mul_f16_e32 v127, 0x388b, v108
	v_mul_f16_e32 v128, 0x33a8, v70
	;; [unrolled: 1-line block ×3, first 2 shown]
	v_fma_f16 v118, v147, 0x3b15, -v139
	v_mul_f16_e32 v141, 0x3b15, v108
	v_mul_f16_e32 v146, 0xbb7b, v70
	v_add_f16_e32 v70, v56, v57
	v_add_f16_e32 v39, v117, v39
	;; [unrolled: 1-line block ×3, first 2 shown]
	v_fmamk_f16 v65, v148, 0xba95, v127
	v_fma_f16 v105, v147, 0xbbc4, -v128
	v_fmamk_f16 v117, v148, 0x33a8, v135
	v_add_f16_e32 v155, v118, v23
	v_fmamk_f16 v23, v148, 0x3770, v141
	v_sub_f16_e32 v153, v57, v56
	v_mul_f16_e32 v152, 0xb5ac, v108
	v_sub_f16_e32 v150, v36, v33
	v_mul_f16_e32 v108, 0xbbc4, v70
	v_add_f16_e32 v145, v65, v66
	v_add_f16_e32 v149, v105, v67
	;; [unrolled: 1-line block ×4, first 2 shown]
	v_mul_f16_e32 v105, 0xb3a8, v153
	v_fma_f16 v65, v147, 0xb5ac, -v146
	v_fmamk_f16 v66, v148, 0xbb7b, v152
	v_add_f16_e32 v156, v23, v37
	v_fmamk_f16 v37, v150, 0xb3a8, v108
	v_mul_f16_e32 v117, 0x3770, v153
	v_fma_f16 v67, v151, 0xbbc4, -v105
	v_add_f16_e32 v157, v65, v69
	v_add_f16_e32 v158, v66, v109
	;; [unrolled: 1-line block ×3, first 2 shown]
	v_mul_f16_e32 v109, 0xb94e, v153
	v_mul_f16_e32 v131, 0xb9fd, v70
	v_fma_f16 v37, v151, 0x3b15, -v117
	v_mul_f16_e32 v138, 0x3a95, v153
	v_add_f16_e32 v23, v67, v38
	v_mul_f16_e32 v118, 0x3b15, v70
	v_fma_f16 v67, v151, 0xb9fd, -v109
	v_fmamk_f16 v69, v150, 0xb94e, v131
	v_add_f16_e32 v38, v37, v40
	v_fma_f16 v40, v151, 0x388b, -v138
	v_fmamk_f16 v39, v150, 0x3770, v118
	v_add_f16_e32 v37, v67, v144
	v_add_f16_e32 v67, v69, v145
	v_mul_f16_e32 v144, 0x388b, v70
	v_add_f16_e32 v40, v40, v149
	v_mul_f16_e32 v145, 0xbb7b, v153
	v_mul_f16_e32 v149, 0xb5ac, v70
	;; [unrolled: 1-line block ×4, first 2 shown]
	v_add_f16_e32 v66, v39, v64
	v_fmamk_f16 v39, v150, 0x3a95, v144
	v_fma_f16 v64, v151, 0xb5ac, -v145
	v_fmamk_f16 v70, v150, 0xbb7b, v149
	v_fma_f16 v159, v151, 0x2fb7, -v153
	v_fmamk_f16 v160, v150, 0x3bf1, v154
	v_add_f16_e32 v69, v39, v68
	v_add_f16_e32 v39, v64, v155
	;; [unrolled: 1-line block ×5, first 2 shown]
	s_barrier
	buffer_gl0_inv
	s_and_saveexec_b32 s1, vcc_lo
	s_cbranch_execz .LBB0_17
; %bb.16:
	v_add_f16_sdwa v63, v63, v62 dst_sel:DWORD dst_unused:UNUSED_PAD src0_sel:DWORD src1_sel:WORD_1
	v_add_f16_e32 v29, v29, v62
	v_mul_f16_e32 v155, 0x3b15, v112
	v_mul_f16_e32 v156, 0xb770, v113
	v_mul_f16_e32 v157, 0x388b, v112
	v_add_f16_e32 v61, v61, v63
	v_add_f16_e32 v29, v30, v29
	v_mul_f16_e32 v158, 0xba95, v113
	v_mul_f16_e32 v159, 0x2fb7, v112
	v_mul_f16_e32 v160, 0xbbf1, v113
	v_add_f16_e32 v60, v60, v61
	;; [unrolled: 5-line block ×3, first 2 shown]
	v_add_f16_e32 v29, v32, v29
	v_mul_f16_e32 v166, 0xba95, v125
	v_sub_f16_e32 v32, v72, v156
	v_mul_f16_e32 v163, 0xb9fd, v112
	v_add_f16_e32 v58, v58, v59
	v_add_f16_e32 v29, v35, v29
	;; [unrolled: 1-line block ×3, first 2 shown]
	v_mul_f16_e32 v164, 0xb94e, v113
	v_mul_f16_e32 v112, 0xbbc4, v112
	v_add_f16_e32 v57, v57, v58
	v_add_f16_e32 v29, v36, v29
	v_mul_f16_e32 v113, 0xb3a8, v113
	v_mul_f16_e32 v167, 0xb5ac, v124
	;; [unrolled: 1-line block ×3, first 2 shown]
	v_sub_f16_e32 v76, v76, v158
	v_add_f16_e32 v75, v157, v75
	v_mul_f16_e32 v169, 0xbbc4, v124
	v_mul_f16_e32 v170, 0xb3a8, v125
	;; [unrolled: 1-line block ×6, first 2 shown]
	v_sub_f16_e32 v87, v87, v162
	v_add_f16_e32 v84, v161, v84
	v_sub_f16_e32 v82, v82, v160
	v_add_f16_e32 v79, v159, v79
	v_add_f16_sdwa v32, v32, v62 dst_sel:DWORD dst_unused:UNUSED_PAD src0_sel:DWORD src1_sel:WORD_1
	v_sub_f16_e32 v59, v74, v166
	v_add_f16_e32 v35, v35, v62
	v_add_f16_e32 v36, v165, v73
	;; [unrolled: 1-line block ×4, first 2 shown]
	v_mul_f16_e32 v173, 0x2fb7, v124
	v_mul_f16_e32 v174, 0x3bf1, v125
	;; [unrolled: 1-line block ×6, first 2 shown]
	v_sub_f16_e32 v110, v110, v113
	v_add_f16_e32 v102, v112, v102
	v_sub_f16_e32 v97, v97, v164
	v_add_f16_e32 v92, v163, v92
	v_add_f16_sdwa v76, v76, v62 dst_sel:DWORD dst_unused:UNUSED_PAD src0_sel:DWORD src1_sel:WORD_1
	v_sub_f16_e32 v81, v81, v168
	v_add_f16_e32 v75, v75, v62
	v_add_f16_e32 v80, v167, v80
	v_mul_f16_e32 v179, 0xb5ac, v133
	v_mul_f16_e32 v180, 0x3b7b, v134
	;; [unrolled: 1-line block ×6, first 2 shown]
	v_add_f16_sdwa v87, v87, v62 dst_sel:DWORD dst_unused:UNUSED_PAD src0_sel:DWORD src1_sel:WORD_1
	v_sub_f16_e32 v98, v98, v172
	v_add_f16_e32 v84, v84, v62
	v_add_f16_e32 v95, v171, v95
	v_add_f16_sdwa v82, v82, v62 dst_sel:DWORD dst_unused:UNUSED_PAD src0_sel:DWORD src1_sel:WORD_1
	v_sub_f16_e32 v90, v90, v170
	v_add_f16_e32 v79, v79, v62
	v_add_f16_e32 v86, v169, v86
	v_add_f16_e32 v32, v59, v32
	v_sub_f16_e32 v33, v78, v176
	v_add_f16_e32 v35, v36, v35
	v_add_f16_e32 v36, v175, v77
	v_add_f16_e32 v55, v55, v56
	v_add_f16_e32 v29, v34, v29
	v_mul_f16_e32 v183, 0x388b, v133
	v_mul_f16_e32 v184, 0xba95, v134
	v_mul_f16_e32 v133, 0xb9fd, v133
	v_mul_f16_e32 v134, 0xb94e, v134
	v_mul_f16_e32 v187, 0xb9fd, v140
	v_mul_f16_e32 v188, 0x394e, v143
	v_add_f16_sdwa v110, v110, v62 dst_sel:DWORD dst_unused:UNUSED_PAD src0_sel:DWORD src1_sel:WORD_1
	v_sub_f16_e32 v123, v123, v125
	v_add_f16_e32 v102, v102, v62
	v_add_f16_e32 v116, v124, v116
	v_add_f16_sdwa v97, v97, v62 dst_sel:DWORD dst_unused:UNUSED_PAD src0_sel:DWORD src1_sel:WORD_1
	v_sub_f16_e32 v111, v111, v174
	v_add_f16_e32 v92, v92, v62
	v_add_f16_e32 v106, v173, v106
	;; [unrolled: 1-line block ×3, first 2 shown]
	v_sub_f16_e32 v81, v89, v178
	v_add_f16_e32 v75, v80, v75
	v_add_f16_e32 v80, v177, v88
	v_mul_f16_e32 v189, 0x3b15, v140
	v_mul_f16_e32 v190, 0x3770, v143
	;; [unrolled: 1-line block ×6, first 2 shown]
	v_add_f16_e32 v87, v98, v87
	v_sub_f16_e32 v98, v114, v182
	v_add_f16_e32 v84, v95, v84
	v_add_f16_e32 v95, v181, v104
	v_add_f16_e32 v82, v90, v82
	v_sub_f16_e32 v90, v100, v180
	v_add_f16_e32 v79, v86, v79
	v_add_f16_e32 v86, v179, v96
	;; [unrolled: 4-line block ×3, first 2 shown]
	v_add_f16_e32 v27, v27, v29
	v_add_f16_e32 v29, v185, v83
	v_mul_f16_e32 v193, 0xbbc4, v140
	v_mul_f16_e32 v194, 0x33a8, v143
	;; [unrolled: 1-line block ×6, first 2 shown]
	v_add_f16_e32 v110, v123, v110
	v_sub_f16_e32 v123, v136, v134
	v_add_f16_e32 v102, v116, v102
	v_add_f16_e32 v116, v133, v130
	v_add_f16_e32 v97, v111, v97
	v_sub_f16_e32 v111, v122, v184
	v_add_f16_e32 v92, v106, v92
	v_add_f16_e32 v106, v183, v119
	;; [unrolled: 4-line block ×3, first 2 shown]
	v_mul_f16_e32 v199, 0x388b, v147
	v_mul_f16_e32 v200, 0xba95, v148
	;; [unrolled: 1-line block ×6, first 2 shown]
	v_add_f16_e32 v87, v98, v87
	v_sub_f16_e32 v98, v126, v192
	v_add_f16_e32 v84, v95, v84
	v_add_f16_e32 v95, v191, v121
	v_add_f16_e32 v82, v90, v82
	v_sub_f16_e32 v90, v115, v190
	v_add_f16_e32 v79, v86, v79
	v_add_f16_e32 v86, v189, v107
	;; [unrolled: 4-line block ×3, first 2 shown]
	v_add_f16_e32 v28, v29, v34
	v_add_f16_e32 v29, v195, v93
	v_mul_f16_e32 v203, 0x3b15, v147
	v_mul_f16_e32 v113, 0x3770, v148
	;; [unrolled: 1-line block ×6, first 2 shown]
	v_add_f16_e32 v110, v123, v110
	v_sub_f16_e32 v123, v142, v143
	v_add_f16_e32 v102, v116, v102
	v_add_f16_e32 v116, v140, v137
	v_add_f16_e32 v97, v111, v97
	v_sub_f16_e32 v111, v132, v194
	v_add_f16_e32 v92, v106, v92
	v_add_f16_e32 v106, v193, v129
	;; [unrolled: 4-line block ×3, first 2 shown]
	v_mul_f16_e32 v207, 0xb9fd, v151
	v_mul_f16_e32 v134, 0xb94e, v150
	;; [unrolled: 1-line block ×4, first 2 shown]
	v_add_f16_e32 v87, v98, v87
	v_sub_f16_e32 v98, v135, v202
	v_add_f16_e32 v84, v95, v84
	v_add_f16_e32 v95, v201, v128
	v_add_f16_e32 v82, v90, v82
	v_sub_f16_e32 v90, v127, v200
	v_add_f16_e32 v79, v86, v79
	v_add_f16_e32 v86, v199, v120
	;; [unrolled: 1-line block ×5, first 2 shown]
	v_sub_f16_e32 v27, v108, v125
	v_add_f16_e32 v28, v29, v28
	v_add_f16_e32 v29, v204, v105
	v_mul_f16_e32 v124, 0xb5ac, v151
	v_mul_f16_e32 v142, 0xbb7b, v150
	v_add_f16_e32 v110, v123, v110
	v_sub_f16_e32 v123, v152, v148
	v_mul_f16_e32 v130, 0x2fb7, v151
	v_mul_f16_e32 v133, 0x3bf1, v150
	v_add_f16_e32 v102, v116, v102
	v_add_f16_e32 v116, v147, v146
	v_add_f16_e32 v97, v111, v97
	v_sub_f16_e32 v111, v141, v113
	v_add_f16_e32 v92, v106, v92
	v_add_f16_e32 v106, v203, v139
	v_add_f16_e32 v75, v81, v76
	v_sub_f16_e32 v31, v118, v206
	;; [unrolled: 4-line block ×4, first 2 shown]
	v_add_f16_e32 v79, v86, v79
	v_add_f16_sdwa v33, v51, v33 dst_sel:WORD_1 dst_unused:UNUSED_PAD src0_sel:DWORD src1_sel:DWORD
	v_add_f16_e32 v25, v26, v25
	v_and_b32_e32 v26, 0xffff, v46
	v_add_f16_e32 v27, v27, v32
	v_add_f16_e32 v28, v29, v28
	;; [unrolled: 1-line block ×4, first 2 shown]
	v_sub_f16_e32 v123, v154, v133
	v_add_f16_e32 v102, v116, v102
	v_add_f16_e32 v116, v130, v153
	;; [unrolled: 1-line block ×3, first 2 shown]
	v_sub_f16_e32 v111, v149, v142
	v_add_f16_e32 v92, v106, v92
	v_add_f16_e32 v106, v124, v145
	;; [unrolled: 1-line block ×6, first 2 shown]
	v_or_b32_sdwa v25, v33, v25 dst_sel:DWORD dst_unused:UNUSED_PAD src0_sel:DWORD src1_sel:WORD_0
	v_lshl_add_u32 v26, v26, 2, v43
	v_pack_b32_f16 v27, v28, v27
	v_add_f16_e32 v28, v88, v82
	v_add_f16_e32 v29, v29, v79
	;; [unrolled: 1-line block ×5, first 2 shown]
	v_pack_b32_f16 v30, v30, v31
	v_add_f16_e32 v31, v106, v92
	ds_write_b32 v26, v25
	ds_write2_b32 v26, v27, v30 offset0:1 offset1:2
	v_pack_b32_f16 v25, v84, v87
	v_pack_b32_f16 v27, v29, v28
	;; [unrolled: 1-line block ×4, first 2 shown]
	v_perm_b32 v30, v70, v39, 0x5040100
	v_perm_b32 v31, v68, v64, 0x5040100
	;; [unrolled: 1-line block ×6, first 2 shown]
	ds_write2_b32 v26, v27, v25 offset0:3 offset1:4
	ds_write2_b32 v26, v29, v28 offset0:5 offset1:6
	;; [unrolled: 1-line block ×5, first 2 shown]
.LBB0_17:
	s_or_b32 exec_lo, exec_lo, s1
	v_add_nc_u32_e32 v27, 0x400, v45
	v_add_nc_u32_e32 v32, 0x800, v45
	s_waitcnt lgkmcnt(0)
	s_barrier
	buffer_gl0_inv
	ds_read2_b32 v[25:26], v45 offset1:143
	ds_read2_b32 v[29:30], v27 offset0:30 offset1:173
	ds_read2_b32 v[27:28], v32 offset0:60 offset1:203
	ds_read_b32 v31, v45 offset:3432
	s_and_saveexec_b32 s1, s0
	s_cbranch_execz .LBB0_19
; %bb.18:
	v_add_nc_u32_e32 v23, 0x200, v45
	v_add_nc_u32_e32 v24, 0xc00, v45
	ds_read_b32 v64, v45 offset:364
	ds_read2_b32 v[37:38], v32 offset0:8 offset1:151
	ds_read2_b32 v[39:40], v23 offset0:106 offset1:249
	;; [unrolled: 1-line block ×3, first 2 shown]
	s_waitcnt lgkmcnt(3)
	v_lshrrev_b32_e32 v68, 16, v64
	s_waitcnt lgkmcnt(2)
	v_lshrrev_b32_e32 v67, 16, v37
	v_lshrrev_b32_e32 v66, 16, v38
	s_waitcnt lgkmcnt(1)
	v_lshrrev_b32_e32 v70, 16, v39
	;; [unrolled: 3-line block ×3, first 2 shown]
	v_lshrrev_b32_e32 v50, 16, v24
.LBB0_19:
	s_or_b32 exec_lo, exec_lo, s1
	s_waitcnt lgkmcnt(3)
	v_lshrrev_b32_e32 v32, 16, v26
	s_waitcnt lgkmcnt(2)
	v_lshrrev_b32_e32 v33, 16, v29
	v_lshrrev_b32_e32 v34, 16, v30
	v_mul_f16_sdwa v35, v4, v26 dst_sel:DWORD dst_unused:UNUSED_PAD src0_sel:WORD_1 src1_sel:DWORD
	s_waitcnt lgkmcnt(1)
	v_lshrrev_b32_e32 v36, 16, v27
	v_mul_f16_sdwa v46, v4, v32 dst_sel:DWORD dst_unused:UNUSED_PAD src0_sel:WORD_1 src1_sel:DWORD
	v_lshrrev_b32_e32 v51, 16, v28
	s_waitcnt lgkmcnt(0)
	v_lshrrev_b32_e32 v52, 16, v31
	v_fma_f16 v32, v4, v32, -v35
	v_mul_f16_sdwa v35, v5, v33 dst_sel:DWORD dst_unused:UNUSED_PAD src0_sel:WORD_1 src1_sel:DWORD
	v_fmac_f16_e32 v46, v4, v26
	v_mul_f16_sdwa v4, v5, v29 dst_sel:DWORD dst_unused:UNUSED_PAD src0_sel:WORD_1 src1_sel:DWORD
	v_mul_f16_sdwa v26, v6, v34 dst_sel:DWORD dst_unused:UNUSED_PAD src0_sel:WORD_1 src1_sel:DWORD
	;; [unrolled: 1-line block ×4, first 2 shown]
	v_fmac_f16_e32 v35, v5, v29
	v_fma_f16 v4, v5, v33, -v4
	v_fmac_f16_e32 v26, v6, v30
	v_fma_f16 v5, v6, v34, -v53
	v_mul_f16_sdwa v6, v20, v52 dst_sel:DWORD dst_unused:UNUSED_PAD src0_sel:WORD_1 src1_sel:DWORD
	v_mul_f16_sdwa v29, v20, v31 dst_sel:DWORD dst_unused:UNUSED_PAD src0_sel:WORD_1 src1_sel:DWORD
	;; [unrolled: 1-line block ×4, first 2 shown]
	v_fmac_f16_e32 v54, v7, v27
	v_mul_f16_sdwa v27, v7, v27 dst_sel:DWORD dst_unused:UNUSED_PAD src0_sel:WORD_1 src1_sel:DWORD
	v_fmac_f16_e32 v6, v20, v31
	v_fma_f16 v20, v20, v52, -v29
	v_fmac_f16_e32 v30, v19, v28
	v_fma_f16 v19, v19, v51, -v33
	v_fma_f16 v7, v7, v36, -v27
	v_add_f16_e32 v27, v46, v6
	v_add_f16_e32 v28, v32, v20
	v_sub_f16_e32 v20, v32, v20
	v_add_f16_e32 v31, v4, v19
	v_add_f16_e32 v29, v35, v30
	;; [unrolled: 1-line block ×3, first 2 shown]
	v_sub_f16_e32 v30, v35, v30
	v_sub_f16_e32 v4, v4, v19
	v_add_f16_e32 v33, v31, v28
	v_add_f16_e32 v19, v26, v54
	v_sub_f16_e32 v5, v7, v5
	v_add_f16_e32 v7, v29, v27
	v_sub_f16_e32 v35, v31, v28
	v_sub_f16_e32 v28, v28, v32
	;; [unrolled: 1-line block ×3, first 2 shown]
	v_add_f16_e32 v32, v32, v33
	v_sub_f16_e32 v26, v54, v26
	v_sub_f16_e32 v34, v29, v27
	;; [unrolled: 1-line block ×4, first 2 shown]
	v_add_f16_e32 v7, v19, v7
	v_add_f16_sdwa v19, v32, v25 dst_sel:DWORD dst_unused:UNUSED_PAD src0_sel:DWORD src1_sel:WORD_1
	v_sub_f16_e32 v6, v46, v6
	v_add_f16_e32 v33, v26, v30
	v_add_f16_e32 v36, v5, v4
	v_sub_f16_e32 v46, v26, v30
	v_sub_f16_e32 v51, v5, v4
	v_add_f16_e32 v25, v7, v25
	v_lshlrev_b32_e32 v52, 16, v19
	v_sub_f16_e32 v30, v30, v6
	v_sub_f16_e32 v4, v4, v20
	;; [unrolled: 1-line block ×4, first 2 shown]
	v_add_f16_e32 v6, v33, v6
	v_add_f16_e32 v20, v36, v20
	v_or_b32_sdwa v33, v52, v25 dst_sel:DWORD dst_unused:UNUSED_PAD src0_sel:DWORD src1_sel:WORD_0
	v_mul_f16_e32 v27, 0x3a52, v27
	v_mul_f16_e32 v28, 0x3a52, v28
	;; [unrolled: 1-line block ×8, first 2 shown]
	v_fmac_f16_e32 v25, 0xbcab, v7
	v_fmac_f16_e32 v19, 0xbcab, v32
	v_fmamk_f16 v7, v29, 0x2b26, v27
	v_fmamk_f16 v29, v31, 0x2b26, v28
	v_fma_f16 v31, v34, 0x39e0, -v36
	v_fma_f16 v32, v35, 0x39e0, -v52
	;; [unrolled: 1-line block ×4, first 2 shown]
	v_fmamk_f16 v34, v26, 0xb574, v46
	v_fmamk_f16 v35, v5, 0xb574, v51
	v_fma_f16 v30, v30, 0xbb00, -v46
	v_fma_f16 v4, v4, 0xbb00, -v51
	;; [unrolled: 1-line block ×4, first 2 shown]
	v_add_f16_e32 v7, v7, v25
	v_add_f16_e32 v29, v29, v19
	v_fmac_f16_e32 v34, 0xb70e, v6
	v_fmac_f16_e32 v35, 0xb70e, v20
	v_add_f16_e32 v31, v31, v25
	v_add_f16_e32 v32, v32, v19
	;; [unrolled: 1-line block ×4, first 2 shown]
	v_fmac_f16_e32 v30, 0xb70e, v6
	v_fmac_f16_e32 v5, 0xb70e, v20
	;; [unrolled: 1-line block ×4, first 2 shown]
	v_add_f16_e32 v6, v35, v7
	v_sub_f16_e32 v20, v29, v34
	v_add_f16_e32 v27, v5, v25
	v_sub_f16_e32 v28, v19, v26
	v_sub_f16_e32 v36, v31, v4
	v_add_f16_e32 v46, v30, v32
	v_add_f16_e32 v4, v4, v31
	v_sub_f16_e32 v30, v32, v30
	v_sub_f16_e32 v5, v25, v5
	v_add_f16_e32 v19, v26, v19
	v_sub_f16_e32 v7, v7, v35
	v_add_f16_e32 v25, v34, v29
	v_pack_b32_f16 v6, v6, v20
	v_pack_b32_f16 v20, v27, v28
	;; [unrolled: 1-line block ×6, first 2 shown]
	s_barrier
	buffer_gl0_inv
	ds_write2_b32 v49, v33, v6 offset1:13
	ds_write2_b32 v49, v20, v26 offset0:26 offset1:39
	ds_write2_b32 v49, v4, v5 offset0:52 offset1:65
	ds_write_b32 v49, v7 offset:312
	s_and_saveexec_b32 s1, s0
	s_cbranch_execz .LBB0_21
; %bb.20:
	v_mul_f16_sdwa v5, v18, v50 dst_sel:DWORD dst_unused:UNUSED_PAD src0_sel:WORD_1 src1_sel:DWORD
	v_mul_f16_sdwa v20, v17, v65 dst_sel:DWORD dst_unused:UNUSED_PAD src0_sel:WORD_1 src1_sel:DWORD
	;; [unrolled: 1-line block ×5, first 2 shown]
	v_fmac_f16_e32 v5, v18, v24
	v_mul_f16_sdwa v24, v18, v24 dst_sel:DWORD dst_unused:UNUSED_PAD src0_sel:WORD_1 src1_sel:DWORD
	v_fmac_f16_e32 v20, v17, v23
	v_mul_f16_sdwa v23, v17, v23 dst_sel:DWORD dst_unused:UNUSED_PAD src0_sel:WORD_1 src1_sel:DWORD
	v_mul_f16_sdwa v6, v3, v66 dst_sel:DWORD dst_unused:UNUSED_PAD src0_sel:WORD_1 src1_sel:DWORD
	;; [unrolled: 1-line block ×3, first 2 shown]
	v_fma_f16 v18, v18, v50, -v24
	v_mul_f16_sdwa v24, v1, v40 dst_sel:DWORD dst_unused:UNUSED_PAD src0_sel:WORD_1 src1_sel:DWORD
	v_fmac_f16_e32 v4, v0, v39
	v_fmac_f16_e32 v19, v1, v40
	v_fma_f16 v0, v0, v70, -v27
	v_mul_f16_sdwa v27, v2, v37 dst_sel:DWORD dst_unused:UNUSED_PAD src0_sel:WORD_1 src1_sel:DWORD
	v_mul_f16_sdwa v28, v3, v38 dst_sel:DWORD dst_unused:UNUSED_PAD src0_sel:WORD_1 src1_sel:DWORD
	v_fma_f16 v17, v17, v65, -v23
	v_fma_f16 v1, v1, v69, -v24
	v_fmac_f16_e32 v6, v3, v38
	v_fmac_f16_e32 v7, v2, v37
	v_fma_f16 v2, v2, v67, -v27
	v_fma_f16 v3, v3, v66, -v28
	v_add_f16_e32 v24, v18, v0
	v_add_f16_e32 v27, v17, v1
	v_sub_f16_e32 v25, v4, v5
	v_sub_f16_e32 v26, v6, v7
	;; [unrolled: 1-line block ×3, first 2 shown]
	v_add_f16_e32 v29, v2, v3
	v_add_f16_e32 v31, v27, v24
	;; [unrolled: 1-line block ×3, first 2 shown]
	v_sub_f16_e32 v30, v25, v26
	v_sub_f16_e32 v28, v26, v23
	v_add_f16_e32 v26, v26, v23
	v_add_f16_e32 v31, v29, v31
	;; [unrolled: 1-line block ×4, first 2 shown]
	v_sub_f16_e32 v2, v3, v2
	v_add_f16_e32 v19, v26, v25
	v_add_f16_e32 v34, v68, v31
	;; [unrolled: 1-line block ×3, first 2 shown]
	v_sub_f16_e32 v1, v1, v17
	v_sub_f16_e32 v0, v0, v18
	;; [unrolled: 1-line block ×3, first 2 shown]
	v_fmamk_f16 v7, v31, 0xbcab, v34
	v_sub_f16_e32 v31, v4, v6
	v_add_f16_e32 v26, v6, v26
	v_sub_f16_e32 v18, v2, v1
	v_sub_f16_e32 v36, v0, v2
	v_add_f16_e32 v2, v2, v1
	v_mul_f16_e32 v32, 0x3a52, v32
	v_sub_f16_e32 v29, v29, v27
	v_mul_f16_e32 v3, 0x3a52, v31
	v_sub_f16_e32 v6, v6, v5
	v_add_f16_e32 v17, v64, v26
	v_sub_f16_e32 v23, v23, v25
	v_add_f16_e32 v2, v2, v0
	v_sub_f16_e32 v0, v1, v0
	v_mul_f16_e32 v28, 0x3846, v28
	v_fmamk_f16 v20, v29, 0x2b26, v32
	v_mul_f16_e32 v29, 0x2b26, v29
	v_fmamk_f16 v35, v6, 0x2b26, v3
	v_fmamk_f16 v26, v26, 0xbcab, v17
	v_mul_f16_e32 v18, 0x3846, v18
	v_mul_f16_e32 v6, 0x2b26, v6
	v_sub_f16_e32 v1, v27, v24
	v_sub_f16_e32 v4, v5, v4
	v_mul_f16_e32 v37, 0xbb00, v23
	v_mul_f16_e32 v24, 0xbb00, v0
	v_fmamk_f16 v33, v30, 0xb574, v28
	v_add_f16_e32 v25, v35, v26
	v_fmamk_f16 v35, v36, 0xb574, v18
	v_fma_f16 v27, v1, 0xb9e0, -v32
	v_fma_f16 v3, v4, 0xb9e0, -v3
	;; [unrolled: 1-line block ×5, first 2 shown]
	v_mov_b32_e32 v6, 0x5b
	v_fma_f16 v5, v30, 0x3574, -v37
	v_fma_f16 v24, v36, 0x3574, -v24
	;; [unrolled: 1-line block ×3, first 2 shown]
	v_fmac_f16_e32 v33, 0xb70e, v19
	v_add_f16_e32 v20, v20, v7
	v_fmac_f16_e32 v35, 0xb70e, v2
	v_add_f16_e32 v1, v1, v7
	v_fmac_f16_e32 v23, 0xb70e, v19
	v_mul_u32_u24_sdwa v6, v48, v6 dst_sel:DWORD dst_unused:UNUSED_PAD src0_sel:WORD_0 src1_sel:DWORD
	v_fmac_f16_e32 v5, 0xb70e, v19
	v_add_f16_e32 v27, v27, v7
	v_add_f16_e32 v3, v3, v26
	v_fmac_f16_e32 v24, 0xb70e, v2
	v_fmac_f16_e32 v0, 0xb70e, v2
	v_add_f16_e32 v2, v4, v26
	v_add_f16_e32 v31, v33, v20
	v_sub_f16_e32 v18, v1, v23
	v_add_f16_e32 v1, v23, v1
	v_add_nc_u32_sdwa v6, v6, v47 dst_sel:DWORD dst_unused:UNUSED_PAD src0_sel:DWORD src1_sel:BYTE_0
	v_sub_f16_e32 v20, v20, v33
	v_add_f16_e32 v23, v35, v25
	v_add_f16_e32 v4, v5, v27
	v_sub_f16_e32 v7, v3, v24
	v_add_f16_e32 v19, v0, v2
	v_sub_f16_e32 v5, v27, v5
	;; [unrolled: 2-line block ×3, first 2 shown]
	v_sub_f16_e32 v30, v25, v35
	v_lshl_add_u32 v2, v6, 2, v43
	v_pack_b32_f16 v6, v17, v34
	v_pack_b32_f16 v17, v23, v20
	;; [unrolled: 1-line block ×7, first 2 shown]
	ds_write2_b32 v2, v6, v17 offset1:13
	ds_write2_b32 v2, v3, v0 offset0:26 offset1:39
	ds_write2_b32 v2, v1, v4 offset0:52 offset1:65
	ds_write_b32 v2, v5 offset:312
.LBB0_21:
	s_or_b32 exec_lo, exec_lo, s1
	s_waitcnt lgkmcnt(0)
	s_barrier
	buffer_gl0_inv
	v_add_nc_u32_e32 v2, 0x400, v45
	ds_read2_b32 v[0:1], v45 offset0:91 offset1:182
	v_add_nc_u32_e32 v4, 0x600, v45
	v_add_nc_u32_e32 v6, 0x800, v45
	;; [unrolled: 1-line block ×3, first 2 shown]
	ds_read2_b32 v[2:3], v2 offset0:17 offset1:108
	ds_read2_b32 v[4:5], v4 offset0:71 offset1:162
	;; [unrolled: 1-line block ×4, first 2 shown]
	ds_read_b32 v19, v45
	s_waitcnt lgkmcnt(5)
	v_lshrrev_b32_e32 v20, 16, v0
	v_lshrrev_b32_e32 v23, 16, v1
	v_mul_f16_sdwa v24, v12, v0 dst_sel:DWORD dst_unused:UNUSED_PAD src0_sel:WORD_1 src1_sel:DWORD
	v_mul_f16_sdwa v25, v13, v1 dst_sel:DWORD dst_unused:UNUSED_PAD src0_sel:WORD_1 src1_sel:DWORD
	s_waitcnt lgkmcnt(4)
	v_lshrrev_b32_e32 v26, 16, v2
	v_lshrrev_b32_e32 v27, 16, v3
	v_mul_f16_sdwa v34, v12, v20 dst_sel:DWORD dst_unused:UNUSED_PAD src0_sel:WORD_1 src1_sel:DWORD
	s_waitcnt lgkmcnt(3)
	v_lshrrev_b32_e32 v28, 16, v4
	v_fma_f16 v20, v12, v20, -v24
	v_mul_f16_sdwa v24, v13, v23 dst_sel:DWORD dst_unused:UNUSED_PAD src0_sel:WORD_1 src1_sel:DWORD
	v_mul_f16_sdwa v35, v14, v26 dst_sel:DWORD dst_unused:UNUSED_PAD src0_sel:WORD_1 src1_sel:DWORD
	;; [unrolled: 1-line block ×3, first 2 shown]
	v_fmac_f16_e32 v34, v12, v0
	v_fma_f16 v23, v13, v23, -v25
	v_mul_f16_sdwa v25, v14, v2 dst_sel:DWORD dst_unused:UNUSED_PAD src0_sel:WORD_1 src1_sel:DWORD
	v_mul_f16_sdwa v36, v15, v3 dst_sel:DWORD dst_unused:UNUSED_PAD src0_sel:WORD_1 src1_sel:DWORD
	v_fmac_f16_e32 v24, v13, v1
	v_fmac_f16_e32 v35, v14, v2
	;; [unrolled: 1-line block ×3, first 2 shown]
	v_mul_f16_sdwa v2, v8, v28 dst_sel:DWORD dst_unused:UNUSED_PAD src0_sel:WORD_1 src1_sel:DWORD
	v_mul_f16_sdwa v3, v8, v4 dst_sel:DWORD dst_unused:UNUSED_PAD src0_sel:WORD_1 src1_sel:DWORD
	s_waitcnt lgkmcnt(0)
	v_add_f16_e32 v12, v34, v19
	v_add_f16_sdwa v13, v20, v19 dst_sel:DWORD dst_unused:UNUSED_PAD src0_sel:DWORD src1_sel:WORD_1
	v_lshrrev_b32_e32 v29, 16, v5
	v_lshrrev_b32_e32 v30, 16, v6
	v_fma_f16 v0, v14, v26, -v25
	v_fmac_f16_e32 v2, v8, v4
	v_fma_f16 v3, v8, v28, -v3
	v_add_f16_e32 v4, v12, v24
	v_add_f16_e32 v8, v13, v23
	v_fma_f16 v1, v15, v27, -v36
	v_mul_f16_sdwa v14, v9, v29 dst_sel:DWORD dst_unused:UNUSED_PAD src0_sel:WORD_1 src1_sel:DWORD
	v_mul_f16_sdwa v12, v10, v30 dst_sel:DWORD dst_unused:UNUSED_PAD src0_sel:WORD_1 src1_sel:DWORD
	v_add_f16_e32 v4, v4, v35
	v_add_f16_e32 v8, v8, v0
	v_mul_f16_sdwa v13, v10, v6 dst_sel:DWORD dst_unused:UNUSED_PAD src0_sel:WORD_1 src1_sel:DWORD
	v_fmac_f16_e32 v14, v9, v5
	v_mul_f16_sdwa v5, v9, v5 dst_sel:DWORD dst_unused:UNUSED_PAD src0_sel:WORD_1 src1_sel:DWORD
	v_fmac_f16_e32 v12, v10, v6
	v_add_f16_e32 v4, v4, v37
	v_add_f16_e32 v6, v8, v1
	v_lshrrev_b32_e32 v31, 16, v7
	v_fma_f16 v5, v9, v29, -v5
	v_lshrrev_b32_e32 v32, 16, v17
	v_add_f16_e32 v4, v4, v2
	v_add_f16_e32 v6, v6, v3
	v_fma_f16 v8, v10, v30, -v13
	v_mul_f16_sdwa v9, v11, v31 dst_sel:DWORD dst_unused:UNUSED_PAD src0_sel:WORD_1 src1_sel:DWORD
	v_mul_f16_sdwa v10, v11, v7 dst_sel:DWORD dst_unused:UNUSED_PAD src0_sel:WORD_1 src1_sel:DWORD
	v_add_f16_e32 v4, v4, v14
	v_add_f16_e32 v6, v6, v5
	v_lshrrev_b32_e32 v33, 16, v18
	v_mul_f16_sdwa v13, v21, v32 dst_sel:DWORD dst_unused:UNUSED_PAD src0_sel:WORD_1 src1_sel:DWORD
	v_fmac_f16_e32 v9, v11, v7
	v_fma_f16 v7, v11, v31, -v10
	v_mul_f16_sdwa v10, v21, v17 dst_sel:DWORD dst_unused:UNUSED_PAD src0_sel:WORD_1 src1_sel:DWORD
	v_add_f16_e32 v4, v4, v12
	v_add_f16_e32 v6, v6, v8
	v_fmac_f16_e32 v13, v21, v17
	v_mul_f16_sdwa v11, v22, v18 dst_sel:DWORD dst_unused:UNUSED_PAD src0_sel:WORD_1 src1_sel:DWORD
	v_mul_f16_sdwa v15, v22, v33 dst_sel:DWORD dst_unused:UNUSED_PAD src0_sel:WORD_1 src1_sel:DWORD
	v_fma_f16 v10, v21, v32, -v10
	v_add_f16_e32 v4, v4, v9
	v_add_f16_e32 v6, v6, v7
	v_fma_f16 v11, v22, v33, -v11
	v_fmac_f16_e32 v15, v22, v18
	v_sub_f16_e32 v40, v23, v10
	v_add_f16_e32 v4, v4, v13
	v_add_f16_e32 v6, v6, v10
	v_sub_f16_e32 v17, v20, v11
	v_add_f16_e32 v20, v20, v11
	v_add_f16_e32 v18, v34, v15
	;; [unrolled: 1-line block ×3, first 2 shown]
	v_add_f16_sdwa v6, v6, v11 dst_sel:WORD_1 dst_unused:UNUSED_PAD src0_sel:DWORD src1_sel:DWORD
	v_mul_f16_e32 v21, 0xb853, v17
	v_sub_f16_e32 v11, v34, v15
	v_mul_f16_e32 v15, 0x3abb, v20
	v_mul_f16_e32 v27, 0x36a6, v20
	v_or_b32_sdwa v4, v6, v4 dst_sel:DWORD dst_unused:UNUSED_PAD src0_sel:DWORD src1_sel:WORD_0
	v_mul_f16_e32 v6, 0xbb47, v17
	v_mul_f16_e32 v28, 0xbbeb, v17
	;; [unrolled: 1-line block ×7, first 2 shown]
	v_add_f16_e32 v10, v23, v10
	v_fmamk_f16 v22, v18, 0x3abb, v21
	v_fmamk_f16 v25, v11, 0x3853, v15
	v_fma_f16 v21, v18, 0x3abb, -v21
	v_fmac_f16_e32 v15, 0xb853, v11
	v_fmamk_f16 v26, v18, 0x36a6, v6
	v_fmamk_f16 v29, v11, 0x3b47, v27
	v_fma_f16 v6, v18, 0x36a6, -v6
	v_fmac_f16_e32 v27, 0xbb47, v11
	;; [unrolled: 4-line block ×4, first 2 shown]
	v_fmamk_f16 v39, v18, 0xbbad, v17
	v_fmamk_f16 v43, v11, 0x3482, v20
	v_fma_f16 v17, v18, 0xbbad, -v17
	v_add_f16_e32 v18, v24, v13
	v_mul_f16_e32 v23, 0xbb47, v40
	v_fmac_f16_e32 v20, 0xb482, v11
	v_sub_f16_e32 v11, v24, v13
	v_mul_f16_e32 v13, 0x36a6, v10
	v_add_f16_e32 v22, v22, v19
	v_add_f16_sdwa v25, v25, v19 dst_sel:DWORD dst_unused:UNUSED_PAD src0_sel:DWORD src1_sel:WORD_1
	v_add_f16_e32 v21, v21, v19
	v_add_f16_sdwa v15, v15, v19 dst_sel:DWORD dst_unused:UNUSED_PAD src0_sel:DWORD src1_sel:WORD_1
	;; [unrolled: 2-line block ×9, first 2 shown]
	v_fmamk_f16 v43, v18, 0x36a6, v23
	v_add_f16_e32 v17, v17, v19
	v_add_f16_sdwa v19, v20, v19 dst_sel:DWORD dst_unused:UNUSED_PAD src0_sel:DWORD src1_sel:WORD_1
	v_fmamk_f16 v20, v11, 0x3b47, v13
	v_mul_f16_e32 v45, 0xba0c, v40
	v_fmac_f16_e32 v13, 0xbb47, v11
	v_add_f16_e32 v22, v43, v22
	v_fma_f16 v23, v18, 0x36a6, -v23
	v_add_f16_e32 v20, v20, v25
	v_fmamk_f16 v25, v18, 0xb93d, v45
	v_mul_f16_e32 v43, 0xb93d, v10
	v_add_f16_e32 v13, v13, v15
	v_mul_f16_e32 v15, 0x3482, v40
	v_add_f16_e32 v21, v23, v21
	v_add_f16_e32 v23, v25, v26
	v_fmamk_f16 v25, v11, 0x3a0c, v43
	v_fma_f16 v26, v18, 0xb93d, -v45
	v_fmac_f16_e32 v43, 0xba0c, v11
	v_fmamk_f16 v45, v18, 0xbbad, v15
	v_mul_f16_e32 v46, 0xbbad, v10
	v_add_f16_e32 v25, v25, v29
	v_add_f16_e32 v6, v26, v6
	;; [unrolled: 1-line block ×4, first 2 shown]
	v_fmamk_f16 v29, v11, 0xb482, v46
	v_mul_f16_e32 v31, 0x3beb, v40
	v_fma_f16 v15, v18, 0xbbad, -v15
	v_mul_f16_e32 v43, 0xb08e, v10
	v_mul_f16_e32 v40, 0x3853, v40
	v_add_f16_e32 v29, v29, v32
	v_fmamk_f16 v32, v18, 0xb08e, v31
	v_fma_f16 v31, v18, 0xb08e, -v31
	v_add_f16_e32 v15, v15, v28
	v_fmamk_f16 v28, v11, 0xbbeb, v43
	v_fmac_f16_e32 v43, 0x3beb, v11
	v_add_f16_e32 v32, v32, v36
	v_fmamk_f16 v36, v18, 0x3abb, v40
	v_add_f16_e32 v31, v31, v33
	v_sub_f16_e32 v33, v0, v7
	v_mul_f16_e32 v10, 0x3abb, v10
	v_add_f16_e32 v34, v43, v34
	v_add_f16_e32 v36, v36, v39
	;; [unrolled: 1-line block ×3, first 2 shown]
	v_mul_f16_e32 v43, 0xbbeb, v33
	v_add_f16_e32 v0, v0, v7
	v_fmac_f16_e32 v46, 0x3482, v11
	v_add_f16_e32 v28, v28, v38
	v_fmamk_f16 v38, v11, 0xb853, v10
	v_fma_f16 v7, v18, 0x3abb, -v40
	v_fmac_f16_e32 v10, 0x3853, v11
	v_sub_f16_e32 v9, v35, v9
	v_fmamk_f16 v11, v39, 0xb08e, v43
	v_mul_f16_e32 v18, 0xb08e, v0
	v_add_f16_e32 v7, v7, v17
	v_add_f16_e32 v10, v10, v19
	v_mul_f16_e32 v19, 0x3482, v33
	v_add_f16_e32 v11, v11, v22
	v_fmamk_f16 v17, v9, 0x3beb, v18
	v_fma_f16 v22, v39, 0xb08e, -v43
	v_fmac_f16_e32 v18, 0xbbeb, v9
	v_mul_f16_e32 v35, 0xbbad, v0
	v_add_f16_e32 v30, v46, v30
	v_add_f16_e32 v17, v17, v20
	v_fmamk_f16 v20, v39, 0xbbad, v19
	v_add_f16_e32 v21, v22, v21
	v_add_f16_e32 v13, v18, v13
	v_fmamk_f16 v18, v9, 0xb482, v35
	v_mul_f16_e32 v22, 0x3b47, v33
	v_fma_f16 v19, v39, 0xbbad, -v19
	v_fmac_f16_e32 v35, 0x3482, v9
	v_add_f16_e32 v20, v20, v23
	v_add_f16_e32 v18, v18, v25
	v_fmamk_f16 v23, v39, 0x36a6, v22
	v_mul_f16_e32 v25, 0x36a6, v0
	v_add_f16_e32 v6, v19, v6
	v_add_f16_e32 v19, v35, v26
	v_mul_f16_e32 v26, 0xb853, v33
	v_add_f16_e32 v24, v38, v24
	v_add_f16_e32 v23, v23, v27
	v_fmamk_f16 v27, v9, 0xbb47, v25
	v_fma_f16 v22, v39, 0x36a6, -v22
	v_fmac_f16_e32 v25, 0x3b47, v9
	v_fmamk_f16 v35, v39, 0x3abb, v26
	v_mul_f16_e32 v38, 0x3abb, v0
	v_mul_f16_e32 v0, 0xb93d, v0
	v_add_f16_e32 v15, v22, v15
	v_add_f16_e32 v22, v25, v30
	;; [unrolled: 1-line block ×3, first 2 shown]
	v_mul_f16_e32 v30, 0xba0c, v33
	v_fmamk_f16 v32, v9, 0x3a0c, v0
	v_sub_f16_e32 v33, v1, v8
	v_add_f16_e32 v27, v27, v29
	v_fmamk_f16 v29, v9, 0x3853, v38
	v_fma_f16 v26, v39, 0x3abb, -v26
	v_fmac_f16_e32 v38, 0xb853, v9
	v_add_f16_e32 v24, v32, v24
	v_add_f16_e32 v32, v37, v12
	;; [unrolled: 1-line block ×3, first 2 shown]
	v_mul_f16_e32 v8, 0xba0c, v33
	v_fmac_f16_e32 v0, 0xba0c, v9
	v_add_f16_e32 v28, v29, v28
	v_fmamk_f16 v29, v39, 0xb93d, v30
	v_add_f16_e32 v26, v26, v31
	v_add_f16_e32 v31, v38, v34
	v_fma_f16 v30, v39, 0xb93d, -v30
	v_sub_f16_e32 v9, v37, v12
	v_mul_f16_e32 v12, 0xb93d, v1
	v_fmamk_f16 v34, v32, 0xb93d, v8
	v_add_f16_e32 v0, v0, v10
	v_mul_f16_e32 v10, 0x3beb, v33
	v_add_f16_e32 v7, v30, v7
	v_fmamk_f16 v30, v9, 0x3a0c, v12
	v_add_f16_e32 v11, v34, v11
	v_fmac_f16_e32 v12, 0xba0c, v9
	v_fmamk_f16 v34, v32, 0xb08e, v10
	v_fma_f16 v8, v32, 0xb93d, -v8
	v_add_f16_e32 v17, v30, v17
	v_mul_f16_e32 v30, 0xb08e, v1
	v_add_f16_e32 v12, v12, v13
	v_add_f16_e32 v13, v34, v20
	v_mul_f16_e32 v20, 0xb853, v33
	v_add_f16_e32 v8, v8, v21
	v_fmamk_f16 v21, v9, 0xbbeb, v30
	v_fma_f16 v10, v32, 0xb08e, -v10
	v_fmac_f16_e32 v30, 0x3beb, v9
	v_mul_f16_e32 v34, 0x3abb, v1
	v_fmamk_f16 v35, v32, 0x3abb, v20
	v_add_f16_e32 v18, v21, v18
	v_add_f16_e32 v6, v10, v6
	;; [unrolled: 1-line block ×3, first 2 shown]
	v_fmamk_f16 v19, v9, 0x3853, v34
	v_add_f16_e32 v21, v35, v23
	v_mul_f16_e32 v23, 0xb482, v33
	v_fma_f16 v20, v32, 0x3abb, -v20
	v_fmac_f16_e32 v34, 0xb853, v9
	v_add_f16_e32 v19, v19, v27
	v_mul_f16_e32 v27, 0xbbad, v1
	v_fmamk_f16 v30, v32, 0xbbad, v23
	v_add_f16_e32 v15, v20, v15
	v_add_f16_e32 v20, v34, v22
	v_mul_f16_e32 v22, 0x3b47, v33
	v_add_f16_e32 v29, v29, v36
	v_fmamk_f16 v33, v9, 0x3482, v27
	v_add_f16_e32 v25, v30, v25
	v_fma_f16 v23, v32, 0xbbad, -v23
	v_fmac_f16_e32 v27, 0xb482, v9
	v_fmamk_f16 v30, v32, 0x36a6, v22
	v_mul_f16_e32 v1, 0x36a6, v1
	v_fma_f16 v22, v32, 0x36a6, -v22
	v_add_f16_e32 v23, v23, v26
	v_add_f16_e32 v26, v27, v31
	;; [unrolled: 1-line block ×3, first 2 shown]
	v_sub_f16_e32 v29, v3, v5
	v_add_f16_e32 v3, v3, v5
	v_fmamk_f16 v30, v9, 0xbb47, v1
	v_add_f16_e32 v5, v2, v14
	v_fmac_f16_e32 v1, 0x3b47, v9
	v_mul_f16_e32 v31, 0xb482, v29
	v_sub_f16_e32 v2, v2, v14
	v_mul_f16_e32 v9, 0xbbad, v3
	v_add_f16_e32 v14, v30, v24
	v_add_f16_e32 v7, v22, v7
	v_fmamk_f16 v24, v5, 0xbbad, v31
	v_add_f16_e32 v0, v1, v0
	v_fmamk_f16 v1, v2, 0x3482, v9
	v_mul_f16_e32 v22, 0x3853, v29
	v_fmac_f16_e32 v9, 0xb482, v2
	v_add_f16_e32 v11, v24, v11
	v_fma_f16 v24, v5, 0xbbad, -v31
	v_add_f16_e32 v1, v1, v17
	v_fmamk_f16 v17, v5, 0x3abb, v22
	v_mul_f16_e32 v30, 0x3abb, v3
	v_add_f16_e32 v9, v9, v12
	v_mul_f16_e32 v12, 0xba0c, v29
	v_add_f16_e32 v8, v24, v8
	v_add_f16_e32 v13, v17, v13
	v_fmamk_f16 v17, v2, 0xb853, v30
	v_fma_f16 v22, v5, 0x3abb, -v22
	v_fmamk_f16 v24, v5, 0xb93d, v12
	v_mul_f16_e32 v31, 0xb93d, v3
	v_fma_f16 v12, v5, 0xb93d, -v12
	v_add_f16_e32 v17, v17, v18
	v_add_f16_e32 v6, v22, v6
	;; [unrolled: 1-line block ×3, first 2 shown]
	v_fmamk_f16 v21, v2, 0x3a0c, v31
	v_mul_f16_e32 v22, 0x3b47, v29
	v_fmac_f16_e32 v31, 0xba0c, v2
	v_mul_f16_e32 v24, 0x36a6, v3
	v_add_f16_e32 v28, v33, v28
	v_add_f16_e32 v19, v21, v19
	v_fmamk_f16 v21, v5, 0x36a6, v22
	v_add_f16_e32 v12, v12, v15
	v_add_f16_e32 v15, v31, v20
	v_fmamk_f16 v20, v2, 0xbb47, v24
	v_fma_f16 v22, v5, 0x36a6, -v22
	v_add_f16_e32 v21, v21, v25
	v_mul_f16_e32 v25, 0xbbeb, v29
	v_mul_f16_e32 v3, 0xb08e, v3
	v_fmac_f16_e32 v30, 0x3853, v2
	v_add_f16_e32 v20, v20, v28
	v_add_f16_e32 v22, v22, v23
	v_fmamk_f16 v23, v5, 0xb08e, v25
	v_fmamk_f16 v28, v2, 0x3beb, v3
	v_fma_f16 v5, v5, 0xb08e, -v25
	v_fmac_f16_e32 v3, 0xbbeb, v2
	v_fmac_f16_e32 v24, 0x3b47, v2
	v_add_f16_e32 v10, v30, v10
	v_add_f16_e32 v23, v23, v27
	v_add_f16_e32 v14, v28, v14
	v_add_f16_e32 v5, v5, v7
	v_add_f16_e32 v3, v3, v0
	v_add_f16_e32 v2, v24, v26
	ds_write_b32 v44, v4
	v_pack_b32_f16 v1, v11, v1
	v_pack_b32_f16 v4, v13, v17
	v_add_nc_u32_e32 v0, 0x400, v44
	v_add_nc_u32_e32 v11, 0x800, v44
	v_pack_b32_f16 v6, v6, v10
	v_add_nc_u32_e32 v10, 0xc00, v44
	v_pack_b32_f16 v7, v18, v19
	v_pack_b32_f16 v13, v21, v20
	;; [unrolled: 1-line block ×4, first 2 shown]
	v_add_nc_u32_e32 v5, 0x600, v44
	v_pack_b32_f16 v2, v22, v2
	v_pack_b32_f16 v12, v12, v15
	;; [unrolled: 1-line block ×3, first 2 shown]
	ds_write2_b32 v44, v1, v4 offset0:91 offset1:182
	ds_write2_b32 v0, v7, v13 offset0:17 offset1:108
	;; [unrolled: 1-line block ×5, first 2 shown]
	s_waitcnt lgkmcnt(0)
	s_barrier
	buffer_gl0_inv
	s_and_b32 exec_lo, exec_lo, vcc_lo
	s_cbranch_execz .LBB0_23
; %bb.22:
	s_clause 0x5
	global_load_dword v12, v42, s[10:11]
	global_load_dword v13, v42, s[10:11] offset:308
	global_load_dword v20, v42, s[10:11] offset:616
	;; [unrolled: 1-line block ×5, first 2 shown]
	ds_read_b32 v24, v44
	v_mad_u64_u32 v[6:7], null, s6, v16, 0
	v_mad_u64_u32 v[8:9], null, s4, v41, 0
	ds_read2_b32 v[4:5], v44 offset0:77 offset1:154
	v_add_nc_u32_e32 v18, 0x200, v44
	ds_read2_b32 v[2:3], v0 offset0:129 offset1:206
	v_add_co_u32 v1, s0, s10, v42
	v_mov_b32_e32 v0, v7
	v_mov_b32_e32 v7, v9
	ds_read2_b32 v[25:26], v18 offset0:103 offset1:180
	s_mov_b32 s18, 0x27a3ee9c
	v_add_co_ci_u32_e64 v17, null, s11, 0, s0
	v_mad_u64_u32 v[27:28], null, s5, v41, v[7:8]
	v_mad_u64_u32 v[15:16], null, s7, v16, v[0:1]
	s_waitcnt lgkmcnt(3)
	v_lshrrev_b32_e32 v28, 16, v24
	s_mov_b32 s19, 0x3f505e1d
	global_load_dword v14, v42, s[10:11] offset:1848
	v_add_co_u32 v0, vcc_lo, 0x800, v1
	v_mov_b32_e32 v9, v27
	s_waitcnt lgkmcnt(2)
	v_lshrrev_b32_e32 v27, 16, v4
	v_lshrrev_b32_e32 v29, 16, v5
	s_waitcnt lgkmcnt(1)
	v_lshrrev_b32_e32 v40, 16, v2
	v_mov_b32_e32 v7, v15
	v_add_co_ci_u32_e32 v1, vcc_lo, 0, v17, vcc_lo
	s_waitcnt lgkmcnt(0)
	v_lshrrev_b32_e32 v30, 16, v25
	v_lshrrev_b32_e32 v31, 16, v26
	v_lshlrev_b64 v[6:7], 2, v[6:7]
	v_lshlrev_b64 v[8:9], 2, v[8:9]
	s_mul_i32 s0, s5, 0x134
	s_mul_hi_u32 s20, s4, 0x134
	s_mul_i32 s17, s4, 0x134
	s_add_i32 s20, s20, s0
	v_add_co_u32 v6, vcc_lo, s8, v6
	v_add_co_ci_u32_e32 v7, vcc_lo, s9, v7, vcc_lo
	s_clause 0x4
	global_load_dword v15, v[0:1], off offset:108
	global_load_dword v16, v[0:1], off offset:416
	;; [unrolled: 1-line block ×5, first 2 shown]
	v_add_co_u32 v6, vcc_lo, v6, v8
	v_add_co_ci_u32_e32 v7, vcc_lo, v7, v9, vcc_lo
	v_add_co_u32 v8, vcc_lo, v6, s17
	v_add_co_ci_u32_e32 v9, vcc_lo, s20, v7, vcc_lo
	s_waitcnt vmcnt(11)
	v_mul_f16_sdwa v32, v28, v12 dst_sel:DWORD dst_unused:UNUSED_PAD src0_sel:DWORD src1_sel:WORD_1
	v_mul_f16_sdwa v33, v24, v12 dst_sel:DWORD dst_unused:UNUSED_PAD src0_sel:DWORD src1_sel:WORD_1
	s_waitcnt vmcnt(10)
	v_mul_f16_sdwa v34, v27, v13 dst_sel:DWORD dst_unused:UNUSED_PAD src0_sel:DWORD src1_sel:WORD_1
	v_mul_f16_sdwa v35, v4, v13 dst_sel:DWORD dst_unused:UNUSED_PAD src0_sel:DWORD src1_sel:WORD_1
	s_waitcnt vmcnt(9)
	v_mul_f16_sdwa v36, v29, v20 dst_sel:DWORD dst_unused:UNUSED_PAD src0_sel:DWORD src1_sel:WORD_1
	v_fmac_f16_e32 v32, v24, v12
	v_fma_f16 v12, v12, v28, -v33
	v_fmac_f16_e32 v34, v4, v13
	v_mul_f16_sdwa v37, v5, v20 dst_sel:DWORD dst_unused:UNUSED_PAD src0_sel:DWORD src1_sel:WORD_1
	s_waitcnt vmcnt(8)
	v_mul_f16_sdwa v38, v30, v21 dst_sel:DWORD dst_unused:UNUSED_PAD src0_sel:DWORD src1_sel:WORD_1
	v_cvt_f32_f16_e32 v4, v32
	v_mul_f16_sdwa v39, v25, v21 dst_sel:DWORD dst_unused:UNUSED_PAD src0_sel:DWORD src1_sel:WORD_1
	v_fmac_f16_e32 v36, v5, v20
	v_cvt_f32_f16_e32 v12, v12
	v_fma_f16 v24, v13, v27, -v35
	v_cvt_f64_f32_e32 v[4:5], v4
	v_fma_f16 v20, v20, v29, -v37
	v_fmac_f16_e32 v38, v25, v21
	v_fma_f16 v27, v21, v30, -v39
	v_cvt_f64_f32_e32 v[12:13], v12
	v_cvt_f32_f16_e32 v21, v34
	s_waitcnt vmcnt(6)
	v_mul_f16_sdwa v43, v40, v23 dst_sel:DWORD dst_unused:UNUSED_PAD src0_sel:DWORD src1_sel:WORD_1
	v_cvt_f32_f16_e32 v24, v24
	v_cvt_f32_f16_e32 v28, v20
	v_mul_f16_sdwa v41, v31, v22 dst_sel:DWORD dst_unused:UNUSED_PAD src0_sel:DWORD src1_sel:WORD_1
	v_cvt_f64_f32_e32 v[20:21], v21
	v_mul_f16_sdwa v45, v2, v23 dst_sel:DWORD dst_unused:UNUSED_PAD src0_sel:DWORD src1_sel:WORD_1
	v_fmac_f16_e32 v43, v2, v23
	v_cvt_f32_f16_e32 v2, v36
	v_cvt_f64_f32_e32 v[24:25], v24
	v_mul_f16_sdwa v42, v26, v22 dst_sel:DWORD dst_unused:UNUSED_PAD src0_sel:DWORD src1_sel:WORD_1
	v_fmac_f16_e32 v41, v26, v22
	v_cvt_f32_f16_e32 v32, v27
	v_cvt_f64_f32_e32 v[26:27], v2
	v_cvt_f32_f16_e32 v30, v38
	v_cvt_f64_f32_e32 v[28:29], v28
	v_fma_f16 v22, v22, v31, -v42
	v_mul_f64 v[4:5], v[4:5], s[18:19]
	v_fma_f16 v2, v23, v40, -v45
	v_cvt_f64_f32_e32 v[30:31], v30
	v_cvt_f32_f16_e32 v34, v41
	v_mul_f64 v[12:13], v[12:13], s[18:19]
	v_cvt_f64_f32_e32 v[32:33], v32
	v_cvt_f32_f16_e32 v22, v22
	v_cvt_f32_f16_e32 v2, v2
	v_cvt_f64_f32_e32 v[34:35], v34
	v_cvt_f32_f16_e32 v38, v43
	v_mul_f64 v[20:21], v[20:21], s[18:19]
	v_cvt_f64_f32_e32 v[36:37], v22
	v_add_co_u32 v22, vcc_lo, v8, s17
	v_mul_f64 v[24:25], v[24:25], s[18:19]
	v_add_co_ci_u32_e32 v23, vcc_lo, s20, v9, vcc_lo
	v_cvt_f64_f32_e32 v[42:43], v2
	v_mul_f64 v[26:27], v[26:27], s[18:19]
	v_add_co_u32 v40, vcc_lo, v22, s17
	v_mul_f64 v[28:29], v[28:29], s[18:19]
	v_and_or_b32 v2, 0x1ff, v5, v4
	v_add_co_ci_u32_e32 v41, vcc_lo, s20, v23, vcc_lo
	v_cvt_f64_f32_e32 v[38:39], v38
	v_and_or_b32 v12, 0x1ff, v13, v12
	v_cmp_ne_u32_e32 vcc_lo, 0, v2
	v_mul_f64 v[30:31], v[30:31], s[18:19]
	v_mul_f64 v[32:33], v[32:33], s[18:19]
	;; [unrolled: 1-line block ×3, first 2 shown]
	v_lshrrev_b32_e32 v4, 8, v5
	v_and_or_b32 v20, 0x1ff, v21, v20
	v_cndmask_b32_e64 v2, 0, 1, vcc_lo
	v_cmp_ne_u32_e32 vcc_lo, 0, v12
	v_mul_f64 v[36:37], v[36:37], s[18:19]
	v_and_or_b32 v24, 0x1ff, v25, v24
	v_bfe_u32 v45, v5, 20, 11
	v_lshrrev_b32_e32 v46, 8, v13
	v_cndmask_b32_e64 v12, 0, 1, vcc_lo
	v_cmp_ne_u32_e32 vcc_lo, 0, v20
	v_and_or_b32 v26, 0x1ff, v27, v26
	v_bfe_u32 v47, v13, 20, 11
	v_and_or_b32 v28, 0x1ff, v29, v28
	v_and_or_b32 v2, 0xffe, v4, v2
	v_cndmask_b32_e64 v20, 0, 1, vcc_lo
	v_cmp_ne_u32_e32 vcc_lo, 0, v24
	v_mul_f64 v[38:39], v[38:39], s[18:19]
	v_lshrrev_b32_e32 v48, 8, v21
	v_bfe_u32 v49, v21, 20, 11
	v_and_or_b32 v30, 0x1ff, v31, v30
	v_cndmask_b32_e64 v24, 0, 1, vcc_lo
	v_cmp_ne_u32_e32 vcc_lo, 0, v26
	v_and_or_b32 v32, 0x1ff, v33, v32
	v_and_or_b32 v34, 0x1ff, v35, v34
	v_bfe_u32 v51, v25, 20, 11
	v_sub_nc_u32_e32 v65, 0x3f1, v45
	v_cndmask_b32_e64 v26, 0, 1, vcc_lo
	v_cmp_ne_u32_e32 vcc_lo, 0, v28
	v_and_or_b32 v36, 0x1ff, v37, v36
	v_add_nc_u32_e32 v45, 0xfffffc10, v45
	v_sub_nc_u32_e32 v66, 0x3f1, v47
	v_and_or_b32 v12, 0xffe, v46, v12
	v_cndmask_b32_e64 v28, 0, 1, vcc_lo
	v_cmp_ne_u32_e32 vcc_lo, 0, v30
	v_lshrrev_b32_e32 v50, 8, v25
	v_bfe_u32 v53, v27, 20, 11
	v_bfe_u32 v55, v29, 20, 11
	v_add_nc_u32_e32 v47, 0xfffffc10, v47
	v_cndmask_b32_e64 v30, 0, 1, vcc_lo
	v_cmp_ne_u32_e32 vcc_lo, 0, v32
	v_and_or_b32 v38, 0x1ff, v39, v38
	v_sub_nc_u32_e32 v67, 0x3f1, v49
	v_sub_nc_u32_e32 v68, 0x3f1, v51
	v_med3_i32 v4, v65, 0, 13
	v_cndmask_b32_e64 v32, 0, 1, vcc_lo
	v_cmp_ne_u32_e32 vcc_lo, 0, v34
	v_med3_i32 v46, v66, 0, 13
	v_and_or_b32 v20, 0xffe, v48, v20
	v_or_b32_e32 v65, 0x1000, v2
	v_lshl_or_b32 v66, v45, 12, v2
	v_cndmask_b32_e64 v34, 0, 1, vcc_lo
	v_cmp_ne_u32_e32 vcc_lo, 0, v36
	v_lshrrev_b32_e32 v52, 8, v27
	v_lshrrev_b32_e32 v54, 8, v29
	v_bfe_u32 v57, v31, 20, 11
	v_bfe_u32 v59, v33, 20, 11
	v_cndmask_b32_e64 v36, 0, 1, vcc_lo
	v_cmp_ne_u32_e32 vcc_lo, 0, v38
	v_add_nc_u32_e32 v49, 0xfffffc10, v49
	v_sub_nc_u32_e32 v69, 0x3f1, v53
	v_sub_nc_u32_e32 v70, 0x3f1, v55
	v_med3_i32 v48, v67, 0, 13
	v_cndmask_b32_e64 v38, 0, 1, vcc_lo
	v_cmp_ne_u32_e32 vcc_lo, 0, v2
	v_and_or_b32 v24, 0xffe, v50, v24
	v_med3_i32 v50, v68, 0, 13
	v_or_b32_e32 v67, 0x1000, v12
	v_lshl_or_b32 v68, v47, 12, v12
	v_cndmask_b32_e64 v2, 0, 1, vcc_lo
	v_cmp_ne_u32_e32 vcc_lo, 0, v12
	v_lshrrev_b32_e32 v56, 8, v31
	v_lshrrev_b32_e32 v58, 8, v33
	v_bfe_u32 v61, v35, 20, 11
	v_bfe_u32 v63, v37, 20, 11
	v_cndmask_b32_e64 v12, 0, 1, vcc_lo
	v_cmp_ne_u32_e32 vcc_lo, 0, v20
	v_add_nc_u32_e32 v51, 0xfffffc10, v51
	v_sub_nc_u32_e32 v71, 0x3f1, v57
	v_sub_nc_u32_e32 v72, 0x3f1, v59
	v_and_or_b32 v26, 0xffe, v52, v26
	v_med3_i32 v52, v69, 0, 13
	v_and_or_b32 v28, 0xffe, v54, v28
	v_med3_i32 v54, v70, 0, 13
	v_or_b32_e32 v69, 0x1000, v20
	v_lshl_or_b32 v70, v49, 12, v20
	v_cndmask_b32_e64 v20, 0, 1, vcc_lo
	v_cmp_ne_u32_e32 vcc_lo, 0, v24
	v_lshrrev_b32_e32 v60, 8, v35
	v_lshrrev_b32_e32 v62, 8, v37
	v_add_nc_u32_e32 v53, 0xfffffc10, v53
	v_sub_nc_u32_e32 v73, 0x3f1, v61
	v_sub_nc_u32_e32 v74, 0x3f1, v63
	v_and_or_b32 v30, 0xffe, v56, v30
	v_med3_i32 v56, v71, 0, 13
	v_and_or_b32 v32, 0xffe, v58, v32
	v_med3_i32 v58, v72, 0, 13
	v_or_b32_e32 v71, 0x1000, v24
	v_lshl_or_b32 v72, v51, 12, v24
	v_cndmask_b32_e64 v24, 0, 1, vcc_lo
	v_cmp_ne_u32_e32 vcc_lo, 0, v26
	v_add_nc_u32_e32 v55, 0xfffffc10, v55
	v_and_or_b32 v34, 0xffe, v60, v34
	v_med3_i32 v60, v73, 0, 13
	v_and_or_b32 v36, 0xffe, v62, v36
	v_med3_i32 v62, v74, 0, 13
	v_or_b32_e32 v73, 0x1000, v26
	v_lshl_or_b32 v74, v53, 12, v26
	v_cndmask_b32_e64 v26, 0, 1, vcc_lo
	v_cmp_ne_u32_e32 vcc_lo, 0, v28
	v_add_nc_u32_e32 v57, 0xfffffc10, v57
	v_or_b32_e32 v75, 0x1000, v28
	v_lshl_or_b32 v76, v55, 12, v28
	v_add_nc_u32_e32 v59, 0xfffffc10, v59
	v_cndmask_b32_e64 v28, 0, 1, vcc_lo
	v_cmp_ne_u32_e32 vcc_lo, 0, v30
	v_or_b32_e32 v77, 0x1000, v30
	v_lshl_or_b32 v78, v57, 12, v30
	v_lshrrev_b32_e32 v85, v4, v65
	v_add_nc_u32_e32 v61, 0xfffffc10, v61
	v_cndmask_b32_e64 v30, 0, 1, vcc_lo
	v_cmp_ne_u32_e32 vcc_lo, 0, v32
	v_or_b32_e32 v79, 0x1000, v32
	v_lshl_or_b32 v80, v59, 12, v32
	v_lshrrev_b32_e32 v86, v46, v67
	v_lshlrev_b32_e32 v4, v4, v85
	v_cndmask_b32_e64 v32, 0, 1, vcc_lo
	v_cmp_ne_u32_e32 vcc_lo, 0, v34
	v_or_b32_e32 v81, 0x1000, v34
	v_lshl_or_b32 v82, v61, 12, v34
	v_lshrrev_b32_e32 v87, v48, v69
	v_lshlrev_b32_e32 v46, v46, v86
	v_cndmask_b32_e64 v34, 0, 1, vcc_lo
	v_cmp_ne_u32_e32 vcc_lo, v4, v65
	v_lshrrev_b32_e32 v88, v50, v71
	v_lshlrev_b32_e32 v48, v48, v87
	v_lshrrev_b32_e32 v89, v52, v73
	v_lshrrev_b32_e32 v90, v54, v75
	v_cndmask_b32_e64 v4, 0, 1, vcc_lo
	v_cmp_ne_u32_e32 vcc_lo, v46, v67
	v_lshlrev_b32_e32 v50, v50, v88
	v_lshlrev_b32_e32 v52, v52, v89
	v_lshrrev_b32_e32 v91, v56, v77
	v_lshlrev_b32_e32 v54, v54, v90
	v_cndmask_b32_e64 v46, 0, 1, vcc_lo
	v_cmp_ne_u32_e32 vcc_lo, v48, v69
	v_lshrrev_b32_e32 v92, v58, v79
	v_lshlrev_b32_e32 v56, v56, v91
	v_or_b32_e32 v83, 0x1000, v36
	v_lshrrev_b32_e32 v93, v60, v81
	v_cndmask_b32_e64 v48, 0, 1, vcc_lo
	v_cmp_ne_u32_e32 vcc_lo, v50, v71
	v_lshlrev_b32_e32 v58, v58, v92
	v_lshrrev_b32_e32 v94, v62, v83
	v_lshlrev_b32_e32 v60, v60, v93
	v_or_b32_e32 v4, v85, v4
	v_cndmask_b32_e64 v50, 0, 1, vcc_lo
	v_cmp_ne_u32_e32 vcc_lo, v52, v73
	v_lshlrev_b32_e32 v62, v62, v94
	v_or_b32_e32 v46, v86, v46
	v_or_b32_e32 v48, v87, v48
	;; [unrolled: 1-line block ×3, first 2 shown]
	v_cndmask_b32_e64 v52, 0, 1, vcc_lo
	v_cmp_ne_u32_e32 vcc_lo, v54, v75
	v_add_nc_u32_e32 v63, 0xfffffc10, v63
	v_lshl_or_b32 v2, v2, 9, 0x7c00
	v_lshl_or_b32 v12, v12, 9, 0x7c00
	v_or_b32_e32 v52, v89, v52
	v_cndmask_b32_e64 v54, 0, 1, vcc_lo
	v_cmp_ne_u32_e32 vcc_lo, v56, v77
	v_lshl_or_b32 v84, v63, 12, v36
	v_lshl_or_b32 v20, v20, 9, 0x7c00
	;; [unrolled: 1-line block ×3, first 2 shown]
	v_or_b32_e32 v54, v90, v54
	v_cndmask_b32_e64 v56, 0, 1, vcc_lo
	v_cmp_ne_u32_e32 vcc_lo, v58, v79
	v_lshl_or_b32 v26, v26, 9, 0x7c00
	v_lshl_or_b32 v28, v28, 9, 0x7c00
	v_lshrrev_b32_e32 v5, 16, v5
	v_or_b32_e32 v56, v91, v56
	v_cndmask_b32_e64 v58, 0, 1, vcc_lo
	v_cmp_ne_u32_e32 vcc_lo, v60, v81
	v_lshrrev_b32_e32 v21, 16, v21
	v_lshrrev_b32_e32 v13, 16, v13
	;; [unrolled: 1-line block ×3, first 2 shown]
	v_or_b32_e32 v58, v92, v58
	v_cndmask_b32_e64 v60, 0, 1, vcc_lo
	v_cmp_ne_u32_e32 vcc_lo, v62, v83
	v_lshl_or_b32 v30, v30, 9, 0x7c00
	v_lshrrev_b32_e32 v25, 16, v25
	v_lshrrev_b32_e32 v29, 16, v29
	v_or_b32_e32 v60, v93, v60
	v_cndmask_b32_e64 v62, 0, 1, vcc_lo
	v_cmp_gt_i32_e32 vcc_lo, 1, v45
	v_lshl_or_b32 v32, v32, 9, 0x7c00
	v_lshrrev_b32_e32 v31, 16, v31
	v_lshl_or_b32 v34, v34, 9, 0x7c00
	v_or_b32_e32 v62, v94, v62
	v_cndmask_b32_e32 v4, v66, v4, vcc_lo
	v_cmp_gt_i32_e32 vcc_lo, 1, v47
	v_lshrrev_b32_e32 v64, 8, v39
	v_lshrrev_b32_e32 v33, 16, v33
	v_and_b32_e32 v65, 7, v4
	v_cndmask_b32_e32 v46, v68, v46, vcc_lo
	v_cmp_gt_i32_e32 vcc_lo, 1, v49
	v_lshrrev_b32_e32 v4, 2, v4
	v_cmp_eq_u32_e64 s0, 3, v65
	v_and_b32_e32 v66, 7, v46
	v_cndmask_b32_e32 v48, v70, v48, vcc_lo
	v_cmp_gt_i32_e32 vcc_lo, 1, v51
	v_lshrrev_b32_e32 v46, 2, v46
	v_cmp_lt_i32_e64 s1, 5, v66
	v_and_b32_e32 v67, 7, v48
	v_cndmask_b32_e32 v50, v72, v50, vcc_lo
	v_cmp_gt_i32_e32 vcc_lo, 1, v53
	v_cmp_eq_u32_e64 s2, 3, v66
	v_lshrrev_b32_e32 v48, 2, v48
	v_cmp_lt_i32_e64 s3, 5, v67
	v_and_b32_e32 v68, 7, v50
	v_cndmask_b32_e32 v52, v74, v52, vcc_lo
	v_cmp_gt_i32_e32 vcc_lo, 1, v55
	v_cmp_eq_u32_e64 s4, 3, v67
	v_lshrrev_b32_e32 v50, 2, v50
	v_cmp_lt_i32_e64 s5, 5, v68
	v_and_b32_e32 v69, 7, v52
	v_cndmask_b32_e32 v54, v76, v54, vcc_lo
	v_cmp_gt_i32_e32 vcc_lo, 1, v57
	v_cmp_eq_u32_e64 s6, 3, v68
	v_lshrrev_b32_e32 v52, 2, v52
	v_cmp_lt_i32_e64 s7, 5, v69
	v_and_b32_e32 v70, 7, v54
	v_cndmask_b32_e32 v56, v78, v56, vcc_lo
	v_cmp_gt_i32_e32 vcc_lo, 1, v59
	v_cmp_eq_u32_e64 s8, 3, v69
	v_lshrrev_b32_e32 v54, 2, v54
	v_cmp_lt_i32_e64 s9, 5, v70
	v_and_b32_e32 v71, 7, v56
	v_cndmask_b32_e32 v58, v80, v58, vcc_lo
	v_cmp_gt_i32_e32 vcc_lo, 1, v61
	v_cmp_eq_u32_e64 s10, 3, v70
	v_lshrrev_b32_e32 v56, 2, v56
	v_cmp_lt_i32_e64 s11, 5, v71
	v_and_b32_e32 v72, 7, v58
	v_cndmask_b32_e32 v60, v82, v60, vcc_lo
	v_cmp_gt_i32_e32 vcc_lo, 1, v63
	v_cmp_eq_u32_e64 s12, 3, v71
	v_lshrrev_b32_e32 v58, 2, v58
	v_cmp_lt_i32_e64 s13, 5, v72
	v_and_b32_e32 v73, 7, v60
	v_cndmask_b32_e32 v62, v84, v62, vcc_lo
	v_cmp_lt_i32_e32 vcc_lo, 5, v65
	v_cmp_eq_u32_e64 s14, 3, v72
	v_lshrrev_b32_e32 v60, 2, v60
	v_cmp_lt_i32_e64 s15, 5, v73
	v_cmp_eq_u32_e64 s16, 3, v73
	s_or_b32 vcc_lo, s0, vcc_lo
	v_add_co_ci_u32_e32 v4, vcc_lo, 0, v4, vcc_lo
	s_or_b32 vcc_lo, s2, s1
	v_add_co_ci_u32_e32 v46, vcc_lo, 0, v46, vcc_lo
	s_or_b32 vcc_lo, s4, s3
	;; [unrolled: 2-line block ×8, first 2 shown]
	v_add_co_ci_u32_e32 v60, vcc_lo, 0, v60, vcc_lo
	v_cmp_gt_i32_e32 vcc_lo, 31, v45
	v_cndmask_b32_e32 v4, 0x7c00, v4, vcc_lo
	v_cmp_gt_i32_e32 vcc_lo, 31, v47
	v_cndmask_b32_e32 v46, 0x7c00, v46, vcc_lo
	;; [unrolled: 2-line block ×8, first 2 shown]
	v_cmp_eq_u32_e32 vcc_lo, 0x40f, v45
	v_cndmask_b32_e32 v2, v4, v2, vcc_lo
	v_cmp_eq_u32_e32 vcc_lo, 0x40f, v47
	v_and_or_b32 v2, 0x8000, v5, v2
	v_cndmask_b32_e32 v4, v46, v12, vcc_lo
	v_cmp_eq_u32_e32 vcc_lo, 0x40f, v49
	v_and_b32_e32 v2, 0xffff, v2
	v_and_or_b32 v4, 0x8000, v13, v4
	v_cndmask_b32_e32 v12, v48, v20, vcc_lo
	v_cmp_eq_u32_e32 vcc_lo, 0x40f, v51
	v_lshl_or_b32 v2, v4, 16, v2
	v_and_or_b32 v5, 0x8000, v21, v12
	v_cndmask_b32_e32 v20, v50, v24, vcc_lo
	v_cmp_eq_u32_e32 vcc_lo, 0x40f, v53
	v_and_b32_e32 v5, 0xffff, v5
	v_and_or_b32 v12, 0x8000, v25, v20
	v_cndmask_b32_e32 v24, v52, v26, vcc_lo
	v_cmp_eq_u32_e32 vcc_lo, 0x40f, v55
	v_lshl_or_b32 v4, v12, 16, v5
	;; [unrolled: 8-line block ×3, first 2 shown]
	global_store_dword v[6:7], v2, off
	global_store_dword v[8:9], v4, off
	;; [unrolled: 1-line block ×3, first 2 shown]
	v_cndmask_b32_e32 v30, v58, v32, vcc_lo
	v_cmp_gt_i32_e32 vcc_lo, 31, v61
	v_bfe_u32 v2, v39, 20, 11
	v_and_or_b32 v21, 0x8000, v31, v28
	v_and_b32_e32 v7, 7, v62
	v_mul_f64 v[4:5], v[42:43], s[18:19]
	v_cndmask_b32_e32 v12, 0x7c00, v60, vcc_lo
	v_cmp_eq_u32_e32 vcc_lo, 0x40f, v61
	v_and_or_b32 v8, 0xffe, v64, v38
	v_sub_nc_u32_e32 v9, 0x3f1, v2
	v_and_or_b32 v24, 0x8000, v33, v30
	v_and_b32_e32 v21, 0xffff, v21
	v_cndmask_b32_e32 v6, v12, v34, vcc_lo
	v_lshrrev_b32_e32 v12, 16, v35
	v_cmp_lt_i32_e32 vcc_lo, 5, v7
	v_cmp_eq_u32_e64 s0, 3, v7
	v_or_b32_e32 v20, 0x1000, v8
	v_med3_i32 v9, v9, 0, 13
	v_and_or_b32 v12, 0x8000, v12, v6
	v_lshrrev_b32_e32 v6, 2, v62
	v_lshl_or_b32 v13, v24, 16, v21
	v_lshrrev_b32_e32 v21, 16, v3
	s_or_b32 vcc_lo, s0, vcc_lo
	v_lshrrev_b32_e32 v22, v9, v20
	v_add_co_ci_u32_e32 v6, vcc_lo, 0, v6, vcc_lo
	v_cmp_ne_u32_e32 vcc_lo, 0, v36
	s_waitcnt vmcnt(5)
	v_mul_f16_sdwa v7, v21, v14 dst_sel:DWORD dst_unused:UNUSED_PAD src0_sel:DWORD src1_sel:WORD_1
	v_lshlrev_b32_e32 v9, v9, v22
	v_and_or_b32 v4, 0x1ff, v5, v4
	v_bfe_u32 v25, v5, 20, 11
	v_cndmask_b32_e64 v23, 0, 1, vcc_lo
	v_cmp_gt_i32_e32 vcc_lo, 31, v63
	v_fmac_f16_e32 v7, v3, v14
	v_add_nc_u32_e32 v26, 0xfffffc10, v2
	global_store_dword v[40:41], v13, off
	v_lshl_or_b32 v23, v23, 9, 0x7c00
	v_cndmask_b32_e32 v24, 0x7c00, v6, vcc_lo
	v_cmp_ne_u32_e32 vcc_lo, v9, v20
	v_cvt_f32_f16_e32 v6, v7
	v_lshrrev_b32_e32 v20, 8, v5
	v_and_b32_e32 v12, 0xffff, v12
	v_mul_f16_sdwa v3, v3, v14 dst_sel:DWORD dst_unused:UNUSED_PAD src0_sel:DWORD src1_sel:WORD_1
	v_cndmask_b32_e64 v9, 0, 1, vcc_lo
	v_cmp_ne_u32_e32 vcc_lo, 0, v4
	v_cvt_f64_f32_e32 v[6:7], v6
	v_fma_f16 v3, v14, v21, -v3
	v_or_b32_e32 v9, v22, v9
	v_cndmask_b32_e64 v4, 0, 1, vcc_lo
	v_cmp_eq_u32_e32 vcc_lo, 0x40f, v63
	v_lshl_or_b32 v22, v26, 12, v8
	v_cvt_f32_f16_e32 v3, v3
	v_and_or_b32 v4, 0xffe, v20, v4
	v_sub_nc_u32_e32 v20, 0x3f1, v25
	v_cndmask_b32_e32 v2, v24, v23, vcc_lo
	v_cmp_gt_i32_e32 vcc_lo, 1, v26
	v_lshrrev_b32_e32 v23, 16, v37
	v_or_b32_e32 v24, 0x1000, v4
	v_med3_i32 v20, v20, 0, 13
	v_cndmask_b32_e32 v9, v22, v9, vcc_lo
	v_and_or_b32 v2, 0x8000, v23, v2
	v_lshrrev_b32_e32 v13, v20, v24
	v_and_b32_e32 v22, 7, v9
	v_mul_f64 v[6:7], v[6:7], s[18:19]
	v_lshl_or_b32 v23, v2, 16, v12
	v_lshlrev_b32_e32 v2, v20, v13
	v_lshrrev_b32_e32 v9, 2, v9
	v_cmp_lt_i32_e32 vcc_lo, 5, v22
	v_cmp_eq_u32_e64 s0, 3, v22
	v_add_nc_u32_e32 v12, 0xfffffc10, v25
	v_cmp_ne_u32_e64 s1, v2, v24
	s_or_b32 vcc_lo, s0, vcc_lo
	v_cndmask_b32_e64 v2, 0, 1, s1
	v_add_co_ci_u32_e32 v14, vcc_lo, 0, v9, vcc_lo
	v_cmp_ne_u32_e32 vcc_lo, 0, v8
	v_or_b32_e32 v9, v13, v2
	v_cvt_f64_f32_e32 v[2:3], v3
	v_lshl_or_b32 v13, v12, 12, v4
	v_cndmask_b32_e64 v20, 0, 1, vcc_lo
	v_cmp_gt_i32_e32 vcc_lo, 1, v12
	v_and_or_b32 v6, 0x1ff, v7, v6
	v_lshrrev_b32_e32 v21, 8, v7
	v_bfe_u32 v22, v7, 20, 11
	v_cndmask_b32_e32 v13, v13, v9, vcc_lo
	v_cmp_gt_i32_e32 vcc_lo, 31, v26
	ds_read2_b32 v[8:9], v11 offset0:27 offset1:104
	v_cndmask_b32_e32 v11, 0x7c00, v14, vcc_lo
	v_cmp_ne_u32_e32 vcc_lo, 0, v6
	v_lshl_or_b32 v14, v20, 9, 0x7c00
	v_and_b32_e32 v20, 7, v13
	v_lshrrev_b32_e32 v13, 2, v13
	v_cndmask_b32_e64 v6, 0, 1, vcc_lo
	v_cmp_eq_u32_e32 vcc_lo, 0x40f, v26
	v_cmp_eq_u32_e64 s0, 3, v20
	v_mul_f64 v[2:3], v[2:3], s[18:19]
	v_and_or_b32 v6, 0xffe, v21, v6
	v_cndmask_b32_e32 v11, v11, v14, vcc_lo
	v_cmp_lt_i32_e32 vcc_lo, 5, v20
	v_sub_nc_u32_e32 v21, 0x3f1, v22
	v_lshrrev_b32_e32 v14, 16, v39
	v_or_b32_e32 v20, 0x1000, v6
	s_waitcnt lgkmcnt(0)
	v_lshrrev_b32_e32 v24, 16, v8
	s_or_b32 vcc_lo, s0, vcc_lo
	v_med3_i32 v21, v21, 0, 13
	v_add_co_ci_u32_e32 v13, vcc_lo, 0, v13, vcc_lo
	v_cmp_ne_u32_e32 vcc_lo, 0, v4
	s_waitcnt vmcnt(4)
	v_mul_f16_sdwa v26, v24, v15 dst_sel:DWORD dst_unused:UNUSED_PAD src0_sel:DWORD src1_sel:WORD_1
	v_lshrrev_b32_e32 v25, v21, v20
	v_and_or_b32 v11, 0x8000, v14, v11
	v_add_nc_u32_e32 v22, 0xfffffc10, v22
	v_cndmask_b32_e64 v4, 0, 1, vcc_lo
	v_cmp_gt_i32_e32 vcc_lo, 31, v12
	v_lshlrev_b32_e32 v14, v21, v25
	v_fmac_f16_e32 v26, v8, v15
	v_and_or_b32 v2, 0x1ff, v3, v2
	v_lshl_or_b32 v4, v4, 9, 0x7c00
	v_cndmask_b32_e32 v13, 0x7c00, v13, vcc_lo
	v_cmp_eq_u32_e32 vcc_lo, 0x40f, v12
	v_bfe_u32 v21, v3, 20, 11
	v_mul_f16_sdwa v8, v8, v15 dst_sel:DWORD dst_unused:UNUSED_PAD src0_sel:DWORD src1_sel:WORD_1
	v_cndmask_b32_e32 v12, v13, v4, vcc_lo
	v_cmp_ne_u32_e32 vcc_lo, v14, v20
	v_cvt_f32_f16_e32 v4, v26
	v_lshrrev_b32_e32 v13, 16, v5
	v_lshrrev_b32_e32 v20, 8, v3
	v_fma_f16 v8, v15, v24, -v8
	v_cndmask_b32_e64 v14, 0, 1, vcc_lo
	v_cmp_ne_u32_e32 vcc_lo, 0, v2
	v_cvt_f64_f32_e32 v[4:5], v4
	v_and_or_b32 v13, 0x8000, v13, v12
	v_add_nc_u32_e32 v15, 0xfffffc10, v21
	v_or_b32_e32 v12, v25, v14
	v_cndmask_b32_e64 v2, 0, 1, vcc_lo
	v_lshl_or_b32 v14, v22, 12, v6
	v_cmp_gt_i32_e32 vcc_lo, 1, v22
	v_and_b32_e32 v25, 0xffff, v11
	v_cvt_f32_f16_e32 v8, v8
	v_and_or_b32 v2, 0xffe, v20, v2
	v_sub_nc_u32_e32 v20, 0x3f1, v21
	v_cndmask_b32_e32 v26, v14, v12, vcc_lo
	v_add_co_u32 v11, vcc_lo, v40, s17
	v_or_b32_e32 v27, 0x1000, v2
	v_med3_i32 v20, v20, 0, 13
	v_add_co_ci_u32_e32 v12, vcc_lo, s20, v41, vcc_lo
	v_and_b32_e32 v28, 7, v26
	v_lshl_or_b32 v25, v13, 16, v25
	v_lshrrev_b32_e32 v29, v20, v27
	v_add_co_u32 v13, vcc_lo, v11, s17
	v_mul_f64 v[4:5], v[4:5], s[18:19]
	v_add_co_ci_u32_e32 v14, vcc_lo, s20, v12, vcc_lo
	v_lshlrev_b32_e32 v20, v20, v29
	v_cmp_lt_i32_e32 vcc_lo, 5, v28
	v_cmp_eq_u32_e64 s0, 3, v28
	v_lshrrev_b32_e32 v26, 2, v26
	v_cmp_ne_u32_e64 s1, v20, v27
	v_lshl_or_b32 v27, v15, 12, v2
	s_or_b32 vcc_lo, s0, vcc_lo
	v_add_co_ci_u32_e32 v24, vcc_lo, 0, v26, vcc_lo
	v_cndmask_b32_e64 v20, 0, 1, s1
	v_cmp_ne_u32_e32 vcc_lo, 0, v6
	v_or_b32_e32 v26, v29, v20
	v_cndmask_b32_e64 v6, 0, 1, vcc_lo
	v_cmp_gt_i32_e32 vcc_lo, 1, v15
	v_cvt_f64_f32_e32 v[20:21], v8
	v_and_or_b32 v4, 0x1ff, v5, v4
	v_bfe_u32 v28, v5, 20, 11
	v_lshl_or_b32 v6, v6, 9, 0x7c00
	v_cndmask_b32_e32 v8, v27, v26, vcc_lo
	v_cmp_gt_i32_e32 vcc_lo, 31, v22
	v_lshrrev_b32_e32 v27, 8, v5
	v_and_b32_e32 v26, 7, v8
	v_cndmask_b32_e32 v24, 0x7c00, v24, vcc_lo
	v_cmp_ne_u32_e32 vcc_lo, 0, v4
	v_lshrrev_b32_e32 v8, 2, v8
	v_cmp_eq_u32_e64 s0, 3, v26
	v_cndmask_b32_e64 v4, 0, 1, vcc_lo
	v_cmp_eq_u32_e32 vcc_lo, 0x40f, v22
	v_and_or_b32 v4, 0xffe, v27, v4
	v_cndmask_b32_e32 v22, v24, v6, vcc_lo
	v_cmp_lt_i32_e32 vcc_lo, 5, v26
	v_sub_nc_u32_e32 v6, 0x3f1, v28
	v_lshrrev_b32_e32 v26, 16, v9
	v_lshrrev_b32_e32 v24, 16, v7
	v_or_b32_e32 v27, 0x1000, v4
	s_or_b32 vcc_lo, s0, vcc_lo
	v_med3_i32 v29, v6, 0, 13
	v_mul_f64 v[6:7], v[20:21], s[18:19]
	v_add_co_ci_u32_e32 v8, vcc_lo, 0, v8, vcc_lo
	s_waitcnt vmcnt(3)
	v_mul_f16_sdwa v20, v26, v16 dst_sel:DWORD dst_unused:UNUSED_PAD src0_sel:DWORD src1_sel:WORD_1
	v_cmp_ne_u32_e32 vcc_lo, 0, v2
	v_lshrrev_b32_e32 v21, v29, v27
	v_and_or_b32 v22, 0x8000, v24, v22
	v_fmac_f16_e32 v20, v9, v16
	v_cndmask_b32_e64 v2, 0, 1, vcc_lo
	v_cmp_gt_i32_e32 vcc_lo, 31, v15
	v_lshlrev_b32_e32 v24, v29, v21
	v_cvt_f32_f16_e32 v20, v20
	v_lshl_or_b32 v2, v2, 9, 0x7c00
	v_cndmask_b32_e32 v8, 0x7c00, v8, vcc_lo
	v_cmp_eq_u32_e32 vcc_lo, 0x40f, v15
	v_lshrrev_b32_e32 v15, 16, v3
	v_cndmask_b32_e32 v8, v8, v2, vcc_lo
	v_cvt_f64_f32_e32 v[2:3], v20
	v_cmp_ne_u32_e32 vcc_lo, v24, v27
	v_and_or_b32 v6, 0x1ff, v7, v6
	v_add_nc_u32_e32 v24, 0xfffffc10, v28
	v_and_or_b32 v8, 0x8000, v15, v8
	v_and_b32_e32 v15, 0xffff, v22
	v_cndmask_b32_e64 v20, 0, 1, vcc_lo
	v_cmp_ne_u32_e32 vcc_lo, 0, v6
	v_lshrrev_b32_e32 v22, 8, v7
	v_bfe_u32 v27, v7, 20, 11
	v_lshl_or_b32 v8, v8, 16, v15
	v_or_b32_e32 v20, v21, v20
	v_cndmask_b32_e64 v6, 0, 1, vcc_lo
	v_lshl_or_b32 v21, v24, 12, v4
	v_cmp_gt_i32_e32 vcc_lo, 1, v24
	v_lshrrev_b32_e32 v7, 16, v7
	v_and_or_b32 v6, 0xffe, v22, v6
	v_sub_nc_u32_e32 v22, 0x3f1, v27
	v_cndmask_b32_e32 v15, v21, v20, vcc_lo
	v_add_co_u32 v20, vcc_lo, v13, s17
	v_mul_f64 v[2:3], v[2:3], s[18:19]
	v_or_b32_e32 v28, 0x1000, v6
	v_med3_i32 v22, v22, 0, 13
	v_add_co_ci_u32_e32 v21, vcc_lo, s20, v14, vcc_lo
	v_and_b32_e32 v29, 7, v15
	global_store_dword v[11:12], v23, off
	global_store_dword v[13:14], v25, off
	;; [unrolled: 1-line block ×3, first 2 shown]
	v_lshrrev_b32_e32 v13, v22, v28
	v_mul_f16_sdwa v8, v9, v16 dst_sel:DWORD dst_unused:UNUSED_PAD src0_sel:DWORD src1_sel:WORD_1
	v_lshrrev_b32_e32 v9, 2, v15
	v_cmp_lt_i32_e32 vcc_lo, 5, v29
	v_cmp_eq_u32_e64 s0, 3, v29
	v_lshlrev_b32_e32 v11, v22, v13
	v_fma_f16 v14, v16, v26, -v8
	v_add_nc_u32_e32 v12, 0xa00, v44
	s_or_b32 vcc_lo, s0, vcc_lo
	v_add_co_ci_u32_e32 v15, vcc_lo, 0, v9, vcc_lo
	v_cmp_ne_u32_e32 vcc_lo, v11, v28
	ds_read2_b32 v[8:9], v12 offset0:53 offset1:130
	v_and_or_b32 v2, 0x1ff, v3, v2
	v_cvt_f32_f16_e32 v11, v14
	v_add_nc_u32_e32 v14, 0xfffffc10, v27
	v_cndmask_b32_e64 v16, 0, 1, vcc_lo
	v_cmp_gt_i32_e32 vcc_lo, 31, v24
	v_lshrrev_b32_e32 v22, 8, v3
	v_cvt_f64_f32_e32 v[11:12], v11
	v_bfe_u32 v23, v3, 20, 11
	v_or_b32_e32 v13, v13, v16
	v_cndmask_b32_e32 v15, 0x7c00, v15, vcc_lo
	v_cmp_ne_u32_e32 vcc_lo, 0, v2
	v_lshl_or_b32 v16, v14, 12, v6
	v_cndmask_b32_e64 v2, 0, 1, vcc_lo
	v_cmp_ne_u32_e32 vcc_lo, 0, v4
	v_and_or_b32 v2, 0xffe, v22, v2
	v_cndmask_b32_e64 v4, 0, 1, vcc_lo
	v_cmp_gt_i32_e32 vcc_lo, 1, v14
	s_waitcnt lgkmcnt(0)
	v_lshrrev_b32_e32 v22, 16, v8
	v_or_b32_e32 v26, 0x1000, v2
	v_lshl_or_b32 v4, v4, 9, 0x7c00
	v_cndmask_b32_e32 v13, v16, v13, vcc_lo
	v_sub_nc_u32_e32 v16, 0x3f1, v23
	v_cmp_eq_u32_e32 vcc_lo, 0x40f, v24
	s_waitcnt vmcnt(2)
	v_mul_f16_sdwa v27, v22, v18 dst_sel:DWORD dst_unused:UNUSED_PAD src0_sel:DWORD src1_sel:WORD_1
	v_mul_f64 v[11:12], v[11:12], s[18:19]
	v_and_b32_e32 v25, 7, v13
	v_med3_i32 v16, v16, 0, 13
	v_cndmask_b32_e32 v15, v15, v4, vcc_lo
	v_lshrrev_b32_e32 v4, 2, v13
	v_fmac_f16_e32 v27, v8, v18
	v_cmp_lt_i32_e32 vcc_lo, 5, v25
	v_cmp_eq_u32_e64 s0, 3, v25
	v_lshrrev_b32_e32 v24, v16, v26
	v_lshrrev_b32_e32 v25, 16, v5
	v_cvt_f32_f16_e32 v5, v27
	v_add_nc_u32_e32 v23, 0xfffffc10, v23
	s_or_b32 vcc_lo, s0, vcc_lo
	v_lshlrev_b32_e32 v13, v16, v24
	v_add_co_ci_u32_e32 v16, vcc_lo, 0, v4, vcc_lo
	v_cmp_ne_u32_e32 vcc_lo, 0, v6
	v_cvt_f64_f32_e32 v[4:5], v5
	v_and_or_b32 v15, 0x8000, v25, v15
	v_mul_f16_sdwa v8, v8, v18 dst_sel:DWORD dst_unused:UNUSED_PAD src0_sel:DWORD src1_sel:WORD_1
	v_cndmask_b32_e64 v6, 0, 1, vcc_lo
	v_cmp_ne_u32_e32 vcc_lo, v13, v26
	v_and_or_b32 v11, 0x1ff, v12, v11
	v_and_b32_e32 v15, 0xffff, v15
	v_fma_f16 v8, v18, v22, -v8
	v_lshl_or_b32 v6, v6, 9, 0x7c00
	v_cndmask_b32_e64 v13, 0, 1, vcc_lo
	v_cmp_gt_i32_e32 vcc_lo, 31, v14
	v_lshrrev_b32_e32 v26, 16, v9
	v_cvt_f32_f16_e32 v8, v8
	v_or_b32_e32 v13, v24, v13
	v_cndmask_b32_e32 v16, 0x7c00, v16, vcc_lo
	v_cmp_eq_u32_e32 vcc_lo, 0x40f, v14
	v_lshl_or_b32 v24, v23, 12, v2
	v_lshrrev_b32_e32 v14, 8, v12
	v_cndmask_b32_e32 v6, v16, v6, vcc_lo
	v_cmp_gt_i32_e32 vcc_lo, 1, v23
	v_bfe_u32 v16, v12, 20, 11
	v_mul_f64 v[4:5], v[4:5], s[18:19]
	v_and_or_b32 v6, 0x8000, v7, v6
	v_cndmask_b32_e32 v13, v24, v13, vcc_lo
	v_cmp_ne_u32_e32 vcc_lo, 0, v11
	v_lshl_or_b32 v15, v6, 16, v15
	v_and_b32_e32 v24, 7, v13
	v_cndmask_b32_e64 v11, 0, 1, vcc_lo
	v_lshrrev_b32_e32 v13, 2, v13
	v_cmp_lt_i32_e32 vcc_lo, 5, v24
	v_and_or_b32 v11, 0xffe, v14, v11
	v_sub_nc_u32_e32 v14, 0x3f1, v16
	v_cmp_eq_u32_e64 s0, 3, v24
	v_or_b32_e32 v7, 0x1000, v11
	v_med3_i32 v14, v14, 0, 13
	s_or_b32 vcc_lo, s0, vcc_lo
	v_and_or_b32 v4, 0x1ff, v5, v4
	v_add_co_ci_u32_e32 v13, vcc_lo, 0, v13, vcc_lo
	v_lshrrev_b32_e32 v24, v14, v7
	v_cmp_gt_i32_e32 vcc_lo, 31, v23
	v_bfe_u32 v18, v5, 20, 11
	v_lshlrev_b32_e32 v6, v14, v24
	v_cndmask_b32_e32 v13, 0x7c00, v13, vcc_lo
	v_cmp_ne_u32_e32 vcc_lo, v6, v7
	v_cvt_f64_f32_e32 v[6:7], v8
	v_add_nc_u32_e32 v8, 0xfffffc10, v16
	v_lshrrev_b32_e32 v16, 8, v5
	v_cndmask_b32_e64 v14, 0, 1, vcc_lo
	v_cmp_ne_u32_e32 vcc_lo, 0, v4
	v_lshl_or_b32 v22, v8, 12, v11
	v_or_b32_e32 v14, v24, v14
	v_cndmask_b32_e64 v4, 0, 1, vcc_lo
	v_cmp_ne_u32_e32 vcc_lo, 0, v2
	v_and_or_b32 v4, 0xffe, v16, v4
	v_cndmask_b32_e64 v2, 0, 1, vcc_lo
	v_cmp_gt_i32_e32 vcc_lo, 1, v8
	v_sub_nc_u32_e32 v16, 0x3f1, v18
	v_lshl_or_b32 v2, v2, 9, 0x7c00
	v_cndmask_b32_e32 v14, v22, v14, vcc_lo
	v_cmp_eq_u32_e32 vcc_lo, 0x40f, v23
	v_or_b32_e32 v22, 0x1000, v4
	v_med3_i32 v16, v16, 0, 13
	v_lshrrev_b32_e32 v23, 16, v3
	v_and_b32_e32 v24, 7, v14
	v_cndmask_b32_e32 v13, v13, v2, vcc_lo
	v_mul_f64 v[2:3], v[6:7], s[18:19]
	v_lshrrev_b32_e32 v25, v16, v22
	v_add_co_u32 v6, vcc_lo, v20, s17
	s_waitcnt vmcnt(1)
	v_mul_f16_sdwa v20, v26, v17 dst_sel:DWORD dst_unused:UNUSED_PAD src0_sel:DWORD src1_sel:WORD_1
	v_add_co_ci_u32_e32 v7, vcc_lo, s20, v21, vcc_lo
	v_and_or_b32 v21, 0x8000, v23, v13
	v_lshlrev_b32_e32 v13, v16, v25
	v_cmp_lt_i32_e32 vcc_lo, 5, v24
	v_cmp_eq_u32_e64 s0, 3, v24
	v_fmac_f16_e32 v20, v9, v17
	v_lshrrev_b32_e32 v14, 2, v14
	v_cmp_ne_u32_e64 s1, v13, v22
	v_add_nc_u32_e32 v16, 0xfffffc10, v18
	s_or_b32 vcc_lo, s0, vcc_lo
	v_cvt_f32_f16_e32 v18, v20
	v_add_co_ci_u32_e32 v20, vcc_lo, 0, v14, vcc_lo
	v_cndmask_b32_e64 v13, 0, 1, s1
	v_cmp_ne_u32_e32 vcc_lo, 0, v11
	v_and_or_b32 v2, 0x1ff, v3, v2
	v_bfe_u32 v23, v3, 20, 11
	v_or_b32_e32 v22, v25, v13
	v_cvt_f64_f32_e32 v[13:14], v18
	v_lshl_or_b32 v18, v16, 12, v4
	v_cndmask_b32_e64 v11, 0, 1, vcc_lo
	v_cmp_gt_i32_e32 vcc_lo, 1, v16
	v_lshl_or_b32 v11, v11, 9, 0x7c00
	v_cndmask_b32_e32 v18, v18, v22, vcc_lo
	v_cmp_ne_u32_e32 vcc_lo, 0, v2
	v_lshrrev_b32_e32 v22, 8, v3
	v_and_b32_e32 v24, 7, v18
	v_cndmask_b32_e64 v2, 0, 1, vcc_lo
	v_cmp_gt_i32_e32 vcc_lo, 31, v8
	v_cmp_eq_u32_e64 s0, 3, v24
	v_and_or_b32 v2, 0xffe, v22, v2
	v_cndmask_b32_e32 v20, 0x7c00, v20, vcc_lo
	v_cmp_eq_u32_e32 vcc_lo, 0x40f, v8
	v_lshrrev_b32_e32 v22, 16, v12
	v_or_b32_e32 v25, 0x1000, v2
	v_cndmask_b32_e32 v8, v20, v11, vcc_lo
	v_sub_nc_u32_e32 v20, 0x3f1, v23
	v_cmp_lt_i32_e32 vcc_lo, 5, v24
	v_mul_f64 v[11:12], v[13:14], s[18:19]
	v_lshrrev_b32_e32 v14, 2, v18
	v_and_or_b32 v8, 0x8000, v22, v8
	v_med3_i32 v13, v20, 0, 13
	s_or_b32 vcc_lo, s0, vcc_lo
	v_and_b32_e32 v18, 0xffff, v21
	v_add_co_ci_u32_e32 v14, vcc_lo, 0, v14, vcc_lo
	v_lshrrev_b32_e32 v20, v13, v25
	v_cmp_ne_u32_e32 vcc_lo, 0, v4
	v_lshl_or_b32 v18, v8, 16, v18
	v_mul_f16_sdwa v21, v9, v17 dst_sel:DWORD dst_unused:UNUSED_PAD src0_sel:DWORD src1_sel:WORD_1
	ds_read2_b32 v[8:9], v10 offset0:79 offset1:156
	v_lshlrev_b32_e32 v13, v13, v20
	v_cndmask_b32_e64 v4, 0, 1, vcc_lo
	v_cmp_gt_i32_e32 vcc_lo, 31, v16
	v_add_nc_u32_e32 v22, 0xfffffc10, v23
	v_lshl_or_b32 v4, v4, 9, 0x7c00
	v_cndmask_b32_e32 v14, 0x7c00, v14, vcc_lo
	v_cmp_ne_u32_e32 vcc_lo, v13, v25
	v_and_or_b32 v11, 0x1ff, v12, v11
	v_fma_f16 v13, v17, v26, -v21
	v_lshrrev_b32_e32 v17, 8, v12
	v_cndmask_b32_e64 v10, 0, 1, vcc_lo
	v_cmp_eq_u32_e32 vcc_lo, 0x40f, v16
	v_lshl_or_b32 v16, v22, 12, v2
	v_cndmask_b32_e32 v14, v14, v4, vcc_lo
	v_cmp_ne_u32_e32 vcc_lo, 0, v11
	v_or_b32_e32 v4, v20, v10
	v_cvt_f32_f16_e32 v10, v13
	v_bfe_u32 v20, v12, 20, 11
	s_waitcnt lgkmcnt(0)
	v_lshrrev_b32_e32 v21, 16, v8
	v_cndmask_b32_e64 v13, 0, 1, vcc_lo
	v_cmp_gt_i32_e32 vcc_lo, 1, v22
	v_cvt_f64_f32_e32 v[10:11], v10
	v_lshrrev_b32_e32 v12, 16, v12
	s_waitcnt vmcnt(0)
	v_mul_f16_sdwa v26, v21, v19 dst_sel:DWORD dst_unused:UNUSED_PAD src0_sel:DWORD src1_sel:WORD_1
	v_and_or_b32 v17, 0xffe, v17, v13
	v_cndmask_b32_e32 v16, v16, v4, vcc_lo
	v_sub_nc_u32_e32 v4, 0x3f1, v20
	v_lshrrev_b32_e32 v13, 16, v5
	v_fmac_f16_e32 v26, v8, v19
	v_or_b32_e32 v24, 0x1000, v17
	v_and_b32_e32 v23, 7, v16
	v_med3_i32 v25, v4, 0, 13
	v_add_co_u32 v4, vcc_lo, v6, s17
	v_add_co_ci_u32_e32 v5, vcc_lo, s20, v7, vcc_lo
	v_lshrrev_b32_e32 v28, v25, v24
	v_cmp_lt_i32_e32 vcc_lo, 5, v23
	v_cmp_eq_u32_e64 s0, 3, v23
	v_and_or_b32 v27, 0x8000, v13, v14
	v_lshrrev_b32_e32 v13, 2, v16
	v_lshlrev_b32_e32 v16, v25, v28
	v_cvt_f32_f16_e32 v14, v26
	s_or_b32 vcc_lo, s0, vcc_lo
	v_mul_f64 v[10:11], v[10:11], s[18:19]
	v_add_co_ci_u32_e32 v23, vcc_lo, 0, v13, vcc_lo
	v_cmp_ne_u32_e32 vcc_lo, v16, v24
	v_cvt_f64_f32_e32 v[13:14], v14
	v_add_nc_u32_e32 v20, 0xfffffc10, v20
	v_mul_f16_sdwa v8, v8, v19 dst_sel:DWORD dst_unused:UNUSED_PAD src0_sel:DWORD src1_sel:WORD_1
	v_cndmask_b32_e64 v16, 0, 1, vcc_lo
	v_cmp_ne_u32_e32 vcc_lo, 0, v2
	v_lshl_or_b32 v24, v20, 12, v17
	v_fma_f16 v8, v19, v21, -v8
	v_lshrrev_b32_e32 v21, 16, v3
	v_or_b32_e32 v16, v28, v16
	v_cndmask_b32_e64 v2, 0, 1, vcc_lo
	v_cmp_gt_i32_e32 vcc_lo, 31, v22
	v_cvt_f32_f16_e32 v8, v8
	v_lshl_or_b32 v2, v2, 9, 0x7c00
	v_cndmask_b32_e32 v19, 0x7c00, v23, vcc_lo
	v_cmp_gt_i32_e32 vcc_lo, 1, v20
	v_and_or_b32 v10, 0x1ff, v11, v10
	v_bfe_u32 v23, v11, 20, 11
	v_cndmask_b32_e32 v16, v24, v16, vcc_lo
	v_cmp_eq_u32_e32 vcc_lo, 0x40f, v22
	v_mul_f64 v[13:14], v[13:14], s[18:19]
	v_lshrrev_b32_e32 v22, 8, v11
	v_lshrrev_b32_e32 v11, 16, v11
	v_cndmask_b32_e32 v19, v19, v2, vcc_lo
	v_cvt_f64_f32_e32 v[2:3], v8
	v_cmp_ne_u32_e32 vcc_lo, 0, v10
	v_and_b32_e32 v8, 7, v16
	v_lshrrev_b32_e32 v16, 2, v16
	v_and_or_b32 v19, 0x8000, v21, v19
	v_and_b32_e32 v21, 0xffff, v27
	v_cndmask_b32_e64 v10, 0, 1, vcc_lo
	v_cmp_lt_i32_e32 vcc_lo, 5, v8
	v_cmp_eq_u32_e64 s0, 3, v8
	v_lshl_or_b32 v8, v19, 16, v21
	v_and_or_b32 v10, 0xffe, v22, v10
	v_sub_nc_u32_e32 v22, 0x3f1, v23
	s_or_b32 vcc_lo, s0, vcc_lo
	v_add_co_ci_u32_e32 v16, vcc_lo, 0, v16, vcc_lo
	v_or_b32_e32 v19, 0x1000, v10
	v_med3_i32 v21, v22, 0, 13
	v_cmp_ne_u32_e32 vcc_lo, 0, v17
	v_and_or_b32 v13, 0x1ff, v14, v13
	v_lshrrev_b32_e32 v24, 8, v14
	v_mul_f64 v[2:3], v[2:3], s[18:19]
	v_lshrrev_b32_e32 v22, v21, v19
	v_cndmask_b32_e64 v17, 0, 1, vcc_lo
	v_cmp_gt_i32_e32 vcc_lo, 31, v20
	v_bfe_u32 v25, v14, 20, 11
	v_lshrrev_b32_e32 v14, 16, v14
	v_lshlrev_b32_e32 v21, v21, v22
	v_lshl_or_b32 v17, v17, 9, 0x7c00
	v_cndmask_b32_e32 v16, 0x7c00, v16, vcc_lo
	v_cmp_ne_u32_e32 vcc_lo, 0, v13
	v_cndmask_b32_e64 v13, 0, 1, vcc_lo
	v_cmp_ne_u32_e32 vcc_lo, v21, v19
	v_add_nc_u32_e32 v21, 0xfffffc10, v23
	v_sub_nc_u32_e32 v23, 0x3f1, v25
	v_and_or_b32 v13, 0xffe, v24, v13
	v_cndmask_b32_e64 v19, 0, 1, vcc_lo
	v_cmp_eq_u32_e32 vcc_lo, 0x40f, v20
	v_and_or_b32 v2, 0x1ff, v3, v2
	v_bfe_u32 v24, v3, 20, 11
	v_or_b32_e32 v20, 0x1000, v13
	v_cndmask_b32_e32 v16, v16, v17, vcc_lo
	v_or_b32_e32 v17, v22, v19
	v_lshl_or_b32 v19, v21, 12, v10
	v_med3_i32 v22, v23, 0, 13
	v_cmp_gt_i32_e32 vcc_lo, 1, v21
	v_lshrrev_b32_e32 v23, 8, v3
	v_and_or_b32 v12, 0x8000, v12, v16
	v_sub_nc_u32_e32 v16, 0x3f1, v24
	v_cndmask_b32_e32 v17, v19, v17, vcc_lo
	v_lshrrev_b32_e32 v19, v22, v20
	v_cmp_ne_u32_e32 vcc_lo, 0, v2
	v_med3_i32 v16, v16, 0, 13
	v_and_b32_e32 v26, 7, v17
	v_lshlrev_b32_e32 v22, v22, v19
	v_cndmask_b32_e64 v2, 0, 1, vcc_lo
	v_lshrrev_b32_e32 v17, 2, v17
	v_cmp_lt_i32_e32 vcc_lo, 5, v26
	v_cmp_ne_u32_e64 s0, v22, v20
	v_and_or_b32 v2, 0xffe, v23, v2
	v_add_nc_u32_e32 v23, 0xfffffc10, v25
	v_cndmask_b32_e64 v20, 0, 1, s0
	v_cmp_eq_u32_e64 s0, 3, v26
	v_or_b32_e32 v22, 0x1000, v2
	v_lshl_or_b32 v25, v23, 12, v13
	v_or_b32_e32 v19, v19, v20
	s_or_b32 vcc_lo, s0, vcc_lo
	v_lshrrev_b32_e32 v20, v16, v22
	v_add_co_ci_u32_e32 v17, vcc_lo, 0, v17, vcc_lo
	v_cmp_gt_i32_e32 vcc_lo, 1, v23
	v_lshlrev_b32_e32 v16, v16, v20
	v_cndmask_b32_e32 v19, v25, v19, vcc_lo
	v_cmp_ne_u32_e32 vcc_lo, 0, v10
	v_cndmask_b32_e64 v10, 0, 1, vcc_lo
	v_cmp_ne_u32_e32 vcc_lo, v16, v22
	v_add_nc_u32_e32 v22, 0xfffffc10, v24
	v_and_b32_e32 v24, 7, v19
	v_lshl_or_b32 v10, v10, 9, 0x7c00
	v_cndmask_b32_e64 v16, 0, 1, vcc_lo
	v_cmp_gt_i32_e32 vcc_lo, 31, v21
	v_cmp_gt_i32_e64 s1, 1, v22
	v_cmp_eq_u32_e64 s0, 3, v24
	v_or_b32_e32 v16, v20, v16
	v_lshl_or_b32 v20, v22, 12, v2
	v_cndmask_b32_e32 v17, 0x7c00, v17, vcc_lo
	v_cmp_lt_i32_e32 vcc_lo, 5, v24
	v_cndmask_b32_e64 v16, v20, v16, s1
	v_cmp_eq_u32_e64 s1, 0x40f, v21
	s_or_b32 vcc_lo, s0, vcc_lo
	v_cndmask_b32_e64 v10, v17, v10, s1
	v_lshrrev_b32_e32 v17, 2, v19
	v_and_b32_e32 v19, 7, v16
	v_lshrrev_b32_e32 v16, 2, v16
	v_cmp_gt_i32_e64 s1, 31, v23
	v_and_or_b32 v10, 0x8000, v11, v10
	v_add_co_ci_u32_e32 v17, vcc_lo, 0, v17, vcc_lo
	v_cmp_ne_u32_e32 vcc_lo, 0, v13
	v_cmp_eq_u32_e64 s0, 3, v19
	v_and_b32_e32 v11, 0xffff, v12
	v_cndmask_b32_e64 v17, 0x7c00, v17, s1
	v_cndmask_b32_e64 v13, 0, 1, vcc_lo
	v_cmp_lt_i32_e32 vcc_lo, 5, v19
	v_lshl_or_b32 v13, v13, 9, 0x7c00
	s_or_b32 vcc_lo, s0, vcc_lo
	v_add_co_ci_u32_e32 v16, vcc_lo, 0, v16, vcc_lo
	v_cmp_ne_u32_e32 vcc_lo, 0, v2
	v_cndmask_b32_e64 v2, 0, 1, vcc_lo
	v_cmp_eq_u32_e32 vcc_lo, 0x40f, v23
	v_lshl_or_b32 v2, v2, 9, 0x7c00
	v_cndmask_b32_e32 v13, v17, v13, vcc_lo
	v_cmp_gt_i32_e32 vcc_lo, 31, v22
	v_and_or_b32 v12, 0x8000, v14, v13
	v_cndmask_b32_e32 v16, 0x7c00, v16, vcc_lo
	v_cmp_eq_u32_e32 vcc_lo, 0x40f, v22
	v_lshrrev_b32_e32 v14, 16, v3
	v_and_b32_e32 v12, 0xffff, v12
	v_cndmask_b32_e32 v13, v16, v2, vcc_lo
	v_add_co_u32 v2, vcc_lo, v4, s17
	v_add_co_ci_u32_e32 v3, vcc_lo, s20, v5, vcc_lo
	v_lshl_or_b32 v16, v10, 16, v11
	v_and_or_b32 v13, 0x8000, v14, v13
	v_add_co_u32 v10, vcc_lo, v2, s17
	v_add_co_ci_u32_e32 v11, vcc_lo, s20, v3, vcc_lo
	v_lshl_or_b32 v14, v13, 16, v12
	v_add_co_u32 v12, vcc_lo, v10, s17
	v_add_co_ci_u32_e32 v13, vcc_lo, s20, v11, vcc_lo
	global_store_dword v[6:7], v15, off
	global_store_dword v[4:5], v18, off
	;; [unrolled: 1-line block ×5, first 2 shown]
	global_load_dword v0, v[0:1], off offset:1648
	v_lshrrev_b32_e32 v1, 16, v9
	s_waitcnt vmcnt(0)
	v_mul_f16_sdwa v2, v1, v0 dst_sel:DWORD dst_unused:UNUSED_PAD src0_sel:DWORD src1_sel:WORD_1
	v_mul_f16_sdwa v3, v9, v0 dst_sel:DWORD dst_unused:UNUSED_PAD src0_sel:DWORD src1_sel:WORD_1
	v_fmac_f16_e32 v2, v9, v0
	v_fma_f16 v0, v0, v1, -v3
	v_cvt_f32_f16_e32 v1, v2
	v_cvt_f32_f16_e32 v2, v0
	v_cvt_f64_f32_e32 v[0:1], v1
	v_cvt_f64_f32_e32 v[2:3], v2
	v_mul_f64 v[0:1], v[0:1], s[18:19]
	v_mul_f64 v[2:3], v[2:3], s[18:19]
	v_and_or_b32 v0, 0x1ff, v1, v0
	v_and_or_b32 v2, 0x1ff, v3, v2
	v_lshrrev_b32_e32 v4, 8, v1
	v_bfe_u32 v5, v1, 20, 11
	v_lshrrev_b32_e32 v6, 8, v3
	v_cmp_ne_u32_e32 vcc_lo, 0, v0
	v_bfe_u32 v7, v3, 20, 11
	v_lshrrev_b32_e32 v1, 16, v1
	v_lshrrev_b32_e32 v3, 16, v3
	v_cndmask_b32_e64 v0, 0, 1, vcc_lo
	v_cmp_ne_u32_e32 vcc_lo, 0, v2
	v_and_or_b32 v0, 0xffe, v4, v0
	v_cndmask_b32_e64 v2, 0, 1, vcc_lo
	v_sub_nc_u32_e32 v4, 0x3f1, v5
	v_add_nc_u32_e32 v5, 0xfffffc10, v5
	v_or_b32_e32 v8, 0x1000, v0
	v_and_or_b32 v2, 0xffe, v6, v2
	v_sub_nc_u32_e32 v6, 0x3f1, v7
	v_med3_i32 v4, v4, 0, 13
	v_add_nc_u32_e32 v7, 0xfffffc10, v7
	v_or_b32_e32 v9, 0x1000, v2
	v_med3_i32 v6, v6, 0, 13
	v_lshrrev_b32_e32 v10, v4, v8
	v_lshrrev_b32_e32 v11, v6, v9
	v_lshlrev_b32_e32 v4, v4, v10
	v_lshlrev_b32_e32 v6, v6, v11
	v_cmp_ne_u32_e32 vcc_lo, v4, v8
	v_lshl_or_b32 v8, v5, 12, v0
	v_cndmask_b32_e64 v4, 0, 1, vcc_lo
	v_cmp_ne_u32_e32 vcc_lo, v6, v9
	v_lshl_or_b32 v9, v7, 12, v2
	v_or_b32_e32 v4, v10, v4
	v_cndmask_b32_e64 v6, 0, 1, vcc_lo
	v_cmp_gt_i32_e32 vcc_lo, 1, v5
	v_or_b32_e32 v6, v11, v6
	v_cndmask_b32_e32 v4, v8, v4, vcc_lo
	v_cmp_gt_i32_e32 vcc_lo, 1, v7
	v_and_b32_e32 v8, 7, v4
	v_cndmask_b32_e32 v6, v9, v6, vcc_lo
	v_lshrrev_b32_e32 v4, 2, v4
	v_cmp_lt_i32_e32 vcc_lo, 5, v8
	v_cmp_eq_u32_e64 s0, 3, v8
	v_and_b32_e32 v9, 7, v6
	v_lshrrev_b32_e32 v6, 2, v6
	s_or_b32 vcc_lo, s0, vcc_lo
	v_cmp_lt_i32_e64 s1, 5, v9
	v_add_co_ci_u32_e32 v4, vcc_lo, 0, v4, vcc_lo
	v_cmp_eq_u32_e64 s2, 3, v9
	v_cmp_ne_u32_e32 vcc_lo, 0, v0
	v_cndmask_b32_e64 v0, 0, 1, vcc_lo
	s_or_b32 vcc_lo, s2, s1
	v_add_co_ci_u32_e32 v6, vcc_lo, 0, v6, vcc_lo
	v_cmp_ne_u32_e32 vcc_lo, 0, v2
	v_lshl_or_b32 v0, v0, 9, 0x7c00
	v_cndmask_b32_e64 v2, 0, 1, vcc_lo
	v_cmp_gt_i32_e32 vcc_lo, 31, v5
	v_lshl_or_b32 v2, v2, 9, 0x7c00
	v_cndmask_b32_e32 v4, 0x7c00, v4, vcc_lo
	v_cmp_gt_i32_e32 vcc_lo, 31, v7
	v_cndmask_b32_e32 v6, 0x7c00, v6, vcc_lo
	v_cmp_eq_u32_e32 vcc_lo, 0x40f, v5
	v_cndmask_b32_e32 v0, v4, v0, vcc_lo
	v_cmp_eq_u32_e32 vcc_lo, 0x40f, v7
	v_and_or_b32 v0, 0x8000, v1, v0
	v_cndmask_b32_e32 v2, v6, v2, vcc_lo
	v_and_b32_e32 v0, 0xffff, v0
	v_and_or_b32 v1, 0x8000, v3, v2
	v_lshl_or_b32 v2, v1, 16, v0
	v_add_co_u32 v0, vcc_lo, v12, s17
	v_add_co_ci_u32_e32 v1, vcc_lo, s20, v13, vcc_lo
	global_store_dword v[0:1], v2, off
.LBB0_23:
	s_endpgm
	.section	.rodata,"a",@progbits
	.p2align	6, 0x0
	.amdhsa_kernel bluestein_single_fwd_len1001_dim1_half_op_CI_CI
		.amdhsa_group_segment_fixed_size 8008
		.amdhsa_private_segment_fixed_size 0
		.amdhsa_kernarg_size 104
		.amdhsa_user_sgpr_count 6
		.amdhsa_user_sgpr_private_segment_buffer 1
		.amdhsa_user_sgpr_dispatch_ptr 0
		.amdhsa_user_sgpr_queue_ptr 0
		.amdhsa_user_sgpr_kernarg_segment_ptr 1
		.amdhsa_user_sgpr_dispatch_id 0
		.amdhsa_user_sgpr_flat_scratch_init 0
		.amdhsa_user_sgpr_private_segment_size 0
		.amdhsa_wavefront_size32 1
		.amdhsa_uses_dynamic_stack 0
		.amdhsa_system_sgpr_private_segment_wavefront_offset 0
		.amdhsa_system_sgpr_workgroup_id_x 1
		.amdhsa_system_sgpr_workgroup_id_y 0
		.amdhsa_system_sgpr_workgroup_id_z 0
		.amdhsa_system_sgpr_workgroup_info 0
		.amdhsa_system_vgpr_workitem_id 0
		.amdhsa_next_free_vgpr 208
		.amdhsa_next_free_sgpr 21
		.amdhsa_reserve_vcc 1
		.amdhsa_reserve_flat_scratch 0
		.amdhsa_float_round_mode_32 0
		.amdhsa_float_round_mode_16_64 0
		.amdhsa_float_denorm_mode_32 3
		.amdhsa_float_denorm_mode_16_64 3
		.amdhsa_dx10_clamp 1
		.amdhsa_ieee_mode 1
		.amdhsa_fp16_overflow 0
		.amdhsa_workgroup_processor_mode 1
		.amdhsa_memory_ordered 1
		.amdhsa_forward_progress 0
		.amdhsa_shared_vgpr_count 0
		.amdhsa_exception_fp_ieee_invalid_op 0
		.amdhsa_exception_fp_denorm_src 0
		.amdhsa_exception_fp_ieee_div_zero 0
		.amdhsa_exception_fp_ieee_overflow 0
		.amdhsa_exception_fp_ieee_underflow 0
		.amdhsa_exception_fp_ieee_inexact 0
		.amdhsa_exception_int_div_zero 0
	.end_amdhsa_kernel
	.text
.Lfunc_end0:
	.size	bluestein_single_fwd_len1001_dim1_half_op_CI_CI, .Lfunc_end0-bluestein_single_fwd_len1001_dim1_half_op_CI_CI
                                        ; -- End function
	.section	.AMDGPU.csdata,"",@progbits
; Kernel info:
; codeLenInByte = 25380
; NumSgprs: 23
; NumVgprs: 208
; ScratchSize: 0
; MemoryBound: 0
; FloatMode: 240
; IeeeMode: 1
; LDSByteSize: 8008 bytes/workgroup (compile time only)
; SGPRBlocks: 2
; VGPRBlocks: 25
; NumSGPRsForWavesPerEU: 23
; NumVGPRsForWavesPerEU: 208
; Occupancy: 4
; WaveLimiterHint : 1
; COMPUTE_PGM_RSRC2:SCRATCH_EN: 0
; COMPUTE_PGM_RSRC2:USER_SGPR: 6
; COMPUTE_PGM_RSRC2:TRAP_HANDLER: 0
; COMPUTE_PGM_RSRC2:TGID_X_EN: 1
; COMPUTE_PGM_RSRC2:TGID_Y_EN: 0
; COMPUTE_PGM_RSRC2:TGID_Z_EN: 0
; COMPUTE_PGM_RSRC2:TIDIG_COMP_CNT: 0
	.text
	.p2alignl 6, 3214868480
	.fill 48, 4, 3214868480
	.type	__hip_cuid_da11b09e42d6a445,@object ; @__hip_cuid_da11b09e42d6a445
	.section	.bss,"aw",@nobits
	.globl	__hip_cuid_da11b09e42d6a445
__hip_cuid_da11b09e42d6a445:
	.byte	0                               ; 0x0
	.size	__hip_cuid_da11b09e42d6a445, 1

	.ident	"AMD clang version 19.0.0git (https://github.com/RadeonOpenCompute/llvm-project roc-6.4.0 25133 c7fe45cf4b819c5991fe208aaa96edf142730f1d)"
	.section	".note.GNU-stack","",@progbits
	.addrsig
	.addrsig_sym __hip_cuid_da11b09e42d6a445
	.amdgpu_metadata
---
amdhsa.kernels:
  - .args:
      - .actual_access:  read_only
        .address_space:  global
        .offset:         0
        .size:           8
        .value_kind:     global_buffer
      - .actual_access:  read_only
        .address_space:  global
        .offset:         8
        .size:           8
        .value_kind:     global_buffer
      - .actual_access:  read_only
        .address_space:  global
        .offset:         16
        .size:           8
        .value_kind:     global_buffer
      - .actual_access:  read_only
        .address_space:  global
        .offset:         24
        .size:           8
        .value_kind:     global_buffer
      - .actual_access:  read_only
        .address_space:  global
        .offset:         32
        .size:           8
        .value_kind:     global_buffer
      - .offset:         40
        .size:           8
        .value_kind:     by_value
      - .address_space:  global
        .offset:         48
        .size:           8
        .value_kind:     global_buffer
      - .address_space:  global
        .offset:         56
        .size:           8
        .value_kind:     global_buffer
      - .address_space:  global
        .offset:         64
        .size:           8
        .value_kind:     global_buffer
      - .address_space:  global
        .offset:         72
        .size:           8
        .value_kind:     global_buffer
      - .offset:         80
        .size:           4
        .value_kind:     by_value
      - .address_space:  global
        .offset:         88
        .size:           8
        .value_kind:     global_buffer
      - .address_space:  global
        .offset:         96
        .size:           8
        .value_kind:     global_buffer
    .group_segment_fixed_size: 8008
    .kernarg_segment_align: 8
    .kernarg_segment_size: 104
    .language:       OpenCL C
    .language_version:
      - 2
      - 0
    .max_flat_workgroup_size: 182
    .name:           bluestein_single_fwd_len1001_dim1_half_op_CI_CI
    .private_segment_fixed_size: 0
    .sgpr_count:     23
    .sgpr_spill_count: 0
    .symbol:         bluestein_single_fwd_len1001_dim1_half_op_CI_CI.kd
    .uniform_work_group_size: 1
    .uses_dynamic_stack: false
    .vgpr_count:     208
    .vgpr_spill_count: 0
    .wavefront_size: 32
    .workgroup_processor_mode: 1
amdhsa.target:   amdgcn-amd-amdhsa--gfx1030
amdhsa.version:
  - 1
  - 2
...

	.end_amdgpu_metadata
